;; amdgpu-corpus repo=ROCm/rocFFT kind=compiled arch=gfx906 opt=O3
	.text
	.amdgcn_target "amdgcn-amd-amdhsa--gfx906"
	.amdhsa_code_object_version 6
	.protected	bluestein_single_back_len221_dim1_dp_op_CI_CI ; -- Begin function bluestein_single_back_len221_dim1_dp_op_CI_CI
	.globl	bluestein_single_back_len221_dim1_dp_op_CI_CI
	.p2align	8
	.type	bluestein_single_back_len221_dim1_dp_op_CI_CI,@function
bluestein_single_back_len221_dim1_dp_op_CI_CI: ; @bluestein_single_back_len221_dim1_dp_op_CI_CI
; %bb.0:
	s_mov_b64 s[62:63], s[2:3]
	v_mul_u32_u24_e32 v1, 0xf10, v0
	s_mov_b64 s[60:61], s[0:1]
	s_load_dwordx4 s[0:3], s[4:5], 0x28
	v_lshrrev_b32_e32 v1, 16, v1
	s_add_u32 s60, s60, s7
	v_mad_u64_u32 v[152:153], s[6:7], s6, 7, v[1:2]
	v_mov_b32_e32 v153, 0
	s_addc_u32 s61, s61, 0
	s_waitcnt lgkmcnt(0)
	v_cmp_gt_u64_e32 vcc, s[0:1], v[152:153]
	s_and_saveexec_b64 s[0:1], vcc
	s_cbranch_execz .LBB0_15
; %bb.1:
	s_mov_b32 s0, 0x24924925
	v_mul_hi_u32 v2, v152, s0
	s_load_dwordx2 s[6:7], s[4:5], 0x0
	s_load_dwordx2 s[12:13], s[4:5], 0x38
	v_mul_lo_u16_e32 v1, 17, v1
	v_sub_u16_e32 v181, v0, v1
	v_sub_u32_e32 v3, v152, v2
	v_lshrrev_b32_e32 v3, 1, v3
	v_add_u32_e32 v2, v3, v2
	v_lshrrev_b32_e32 v2, 2, v2
	v_mul_lo_u32 v2, v2, 7
	v_cmp_gt_u16_e32 vcc, 13, v181
	v_lshlrev_b32_e32 v255, 4, v181
	v_sub_u32_e32 v0, v152, v2
	v_mul_u32_u24_e32 v140, 0xdd, v0
	v_lshlrev_b32_e32 v182, 4, v140
	s_and_saveexec_b64 s[14:15], vcc
	s_cbranch_execz .LBB0_3
; %bb.2:
	s_load_dwordx2 s[0:1], s[4:5], 0x18
	v_or_b32_e32 v121, 0xd0, v181
	s_waitcnt lgkmcnt(0)
	s_load_dwordx4 s[8:11], s[0:1], 0x0
	s_waitcnt lgkmcnt(0)
	v_mad_u64_u32 v[0:1], s[0:1], s10, v152, 0
	v_mad_u64_u32 v[2:3], s[0:1], s8, v181, 0
	;; [unrolled: 1-line block ×4, first 2 shown]
	v_mov_b32_e32 v1, v4
	v_lshlrev_b64 v[0:1], 4, v[0:1]
	v_mov_b32_e32 v3, v5
	v_mov_b32_e32 v6, s3
	v_lshlrev_b64 v[2:3], 4, v[2:3]
	v_add_co_u32_e64 v12, s[0:1], s2, v0
	v_addc_co_u32_e64 v13, s[0:1], v6, v1, s[0:1]
	v_add_co_u32_e64 v46, s[0:1], v12, v2
	v_addc_co_u32_e64 v47, s[0:1], v13, v3, s[0:1]
	s_mul_i32 s0, s9, 0xd0
	s_mul_hi_u32 s3, s8, 0xd0
	s_mul_i32 s2, s8, 0xd0
	s_add_i32 s3, s3, s0
	v_mov_b32_e32 v48, s3
	v_add_co_u32_e64 v49, s[0:1], s2, v46
	v_addc_co_u32_e64 v50, s[0:1], v47, v48, s[0:1]
	v_mov_b32_e32 v52, s3
	v_add_co_u32_e64 v51, s[0:1], s2, v49
	v_addc_co_u32_e64 v52, s[0:1], v50, v52, s[0:1]
	;; [unrolled: 3-line block ×3, first 2 shown]
	global_load_dwordx4 v[0:3], v255, s[6:7]
	global_load_dwordx4 v[4:7], v[46:47], off
	global_load_dwordx4 v[8:11], v255, s[6:7] offset:208
	global_load_dwordx4 v[14:17], v255, s[6:7] offset:416
	;; [unrolled: 1-line block ×9, first 2 shown]
	v_mov_b32_e32 v59, s3
	v_add_co_u32_e64 v61, s[0:1], s2, v57
	v_addc_co_u32_e64 v62, s[0:1], v58, v59, s[0:1]
	v_mov_b32_e32 v63, s3
	v_add_co_u32_e64 v65, s[0:1], s2, v61
	v_addc_co_u32_e64 v66, s[0:1], v62, v63, s[0:1]
	;; [unrolled: 3-line block ×3, first 2 shown]
	v_mov_b32_e32 v71, s3
	v_add_co_u32_e64 v73, s[0:1], s2, v69
	global_load_dwordx4 v[46:49], v[49:50], off
	v_addc_co_u32_e64 v74, s[0:1], v70, v71, s[0:1]
	global_load_dwordx4 v[54:57], v[57:58], off
	v_mov_b32_e32 v75, s3
	global_load_dwordx4 v[50:53], v[51:52], off
	v_add_co_u32_e64 v77, s[0:1], s2, v73
	global_load_dwordx4 v[58:61], v[61:62], off
	v_addc_co_u32_e64 v78, s[0:1], v74, v75, s[0:1]
	v_mov_b32_e32 v79, s3
	v_add_co_u32_e64 v81, s[0:1], s2, v77
	v_addc_co_u32_e64 v82, s[0:1], v78, v79, s[0:1]
	v_mov_b32_e32 v83, s3
	v_add_co_u32_e64 v85, s[0:1], s2, v81
	v_addc_co_u32_e64 v86, s[0:1], v82, v83, s[0:1]
	v_mov_b32_e32 v87, s3
	v_add_co_u32_e64 v98, s[0:1], s2, v85
	global_load_dwordx4 v[62:65], v[65:66], off
	v_addc_co_u32_e64 v99, s[0:1], v86, v87, s[0:1]
	global_load_dwordx4 v[66:69], v[69:70], off
	v_mov_b32_e32 v100, s3
	v_add_co_u32_e64 v102, s[0:1], s2, v98
	global_load_dwordx4 v[70:73], v[73:74], off
	v_addc_co_u32_e64 v103, s[0:1], v99, v100, s[0:1]
	global_load_dwordx4 v[74:77], v[77:78], off
	v_mov_b32_e32 v104, s3
	v_add_co_u32_e64 v114, s[0:1], s2, v102
	v_addc_co_u32_e64 v115, s[0:1], v103, v104, s[0:1]
	v_mov_b32_e32 v116, s3
	v_add_co_u32_e64 v118, s[0:1], s2, v114
	v_addc_co_u32_e64 v119, s[0:1], v115, v116, s[0:1]
	v_mad_u64_u32 v[130:131], s[0:1], s8, v121, 0
	global_load_dwordx4 v[78:81], v[81:82], off
	v_mov_b32_e32 v120, s3
	global_load_dwordx4 v[82:85], v[85:86], off
	s_nop 0
	global_load_dwordx4 v[86:89], v[98:99], off
	global_load_dwordx4 v[90:93], v255, s[6:7] offset:2080
	global_load_dwordx4 v[94:97], v255, s[6:7] offset:2288
	s_waitcnt vmcnt(22)
	v_mul_f64 v[138:139], v[6:7], v[2:3]
	global_load_dwordx4 v[98:101], v[102:103], off
	s_nop 0
	global_load_dwordx4 v[102:105], v[114:115], off
	global_load_dwordx4 v[106:109], v255, s[6:7] offset:2496
	global_load_dwordx4 v[110:113], v255, s[6:7] offset:2704
	s_nop 0
	global_load_dwordx4 v[114:117], v[118:119], off
	v_add_co_u32_e64 v118, s[0:1], s2, v118
	v_addc_co_u32_e64 v119, s[0:1], v119, v120, s[0:1]
	v_mov_b32_e32 v120, v131
	v_mad_u64_u32 v[131:132], s[0:1], s9, v121, v[120:121]
	global_load_dwordx4 v[118:121], v[118:119], off
	s_nop 0
	global_load_dwordx4 v[122:125], v255, s[6:7] offset:2912
	global_load_dwordx4 v[126:129], v255, s[6:7] offset:3120
	v_lshlrev_b64 v[130:131], 4, v[130:131]
	v_add_co_u32_e64 v12, s[0:1], v12, v130
	v_addc_co_u32_e64 v13, s[0:1], v13, v131, s[0:1]
	global_load_dwordx4 v[130:133], v[12:13], off
	global_load_dwordx4 v[134:137], v255, s[6:7] offset:3328
	v_mul_f64 v[12:13], v[4:5], v[2:3]
	v_fma_f64 v[2:3], v[4:5], v[0:1], v[138:139]
	v_fma_f64 v[4:5], v[6:7], v[0:1], -v[12:13]
	v_lshl_add_u32 v6, v181, 4, v182
	s_waitcnt vmcnt(22)
	v_mul_f64 v[0:1], v[48:49], v[10:11]
	s_waitcnt vmcnt(21)
	v_mul_f64 v[12:13], v[54:55], v[20:21]
	ds_write_b128 v6, v[2:5]
	v_mul_f64 v[2:3], v[46:47], v[10:11]
	s_waitcnt vmcnt(20)
	v_mul_f64 v[4:5], v[52:53], v[16:17]
	v_mul_f64 v[6:7], v[50:51], v[16:17]
	;; [unrolled: 1-line block ×3, first 2 shown]
	s_waitcnt vmcnt(19)
	v_mul_f64 v[16:17], v[60:61], v[24:25]
	v_mul_f64 v[20:21], v[58:59], v[24:25]
	v_fma_f64 v[0:1], v[46:47], v[8:9], v[0:1]
	v_add_u32_e32 v46, v182, v255
	v_fma_f64 v[2:3], v[48:49], v[8:9], -v[2:3]
	v_fma_f64 v[4:5], v[50:51], v[14:15], v[4:5]
	v_fma_f64 v[6:7], v[52:53], v[14:15], -v[6:7]
	v_fma_f64 v[8:9], v[54:55], v[18:19], v[10:11]
	;; [unrolled: 2-line block ×3, first 2 shown]
	s_waitcnt vmcnt(18)
	v_mul_f64 v[16:17], v[64:65], v[28:29]
	v_mul_f64 v[18:19], v[62:63], v[28:29]
	v_fma_f64 v[14:15], v[60:61], v[22:23], -v[20:21]
	s_waitcnt vmcnt(17)
	v_mul_f64 v[20:21], v[68:69], v[32:33]
	v_mul_f64 v[22:23], v[66:67], v[32:33]
	s_waitcnt vmcnt(16)
	v_mul_f64 v[24:25], v[72:73], v[36:37]
	v_mul_f64 v[28:29], v[70:71], v[36:37]
	v_fma_f64 v[16:17], v[62:63], v[26:27], v[16:17]
	s_waitcnt vmcnt(15)
	v_mul_f64 v[32:33], v[76:77], v[40:41]
	v_mul_f64 v[36:37], v[74:75], v[40:41]
	v_fma_f64 v[18:19], v[64:65], v[26:27], -v[18:19]
	v_fma_f64 v[20:21], v[66:67], v[30:31], v[20:21]
	v_fma_f64 v[22:23], v[68:69], v[30:31], -v[22:23]
	v_fma_f64 v[24:25], v[70:71], v[34:35], v[24:25]
	;; [unrolled: 2-line block ×3, first 2 shown]
	v_fma_f64 v[30:31], v[76:77], v[38:39], -v[36:37]
	ds_write_b128 v46, v[0:3] offset:208
	ds_write_b128 v46, v[4:7] offset:416
	;; [unrolled: 1-line block ×8, first 2 shown]
	s_waitcnt vmcnt(14)
	v_mul_f64 v[0:1], v[80:81], v[44:45]
	v_mul_f64 v[2:3], v[78:79], v[44:45]
	s_waitcnt vmcnt(11)
	v_mul_f64 v[4:5], v[84:85], v[92:93]
	v_mul_f64 v[6:7], v[82:83], v[92:93]
	;; [unrolled: 3-line block ×5, first 2 shown]
	v_fma_f64 v[0:1], v[78:79], v[42:43], v[0:1]
	v_fma_f64 v[2:3], v[80:81], v[42:43], -v[2:3]
	v_fma_f64 v[4:5], v[82:83], v[90:91], v[4:5]
	v_fma_f64 v[6:7], v[84:85], v[90:91], -v[6:7]
	;; [unrolled: 2-line block ×3, first 2 shown]
	s_waitcnt vmcnt(3)
	v_mul_f64 v[20:21], v[116:117], v[124:125]
	v_mul_f64 v[22:23], v[114:115], v[124:125]
	s_waitcnt vmcnt(2)
	v_mul_f64 v[24:25], v[120:121], v[128:129]
	v_mul_f64 v[26:27], v[118:119], v[128:129]
	v_fma_f64 v[12:13], v[98:99], v[106:107], v[12:13]
	v_fma_f64 v[14:15], v[100:101], v[106:107], -v[14:15]
	v_fma_f64 v[16:17], v[102:103], v[110:111], v[16:17]
	v_fma_f64 v[18:19], v[104:105], v[110:111], -v[18:19]
	v_fma_f64 v[20:21], v[114:115], v[122:123], v[20:21]
	s_waitcnt vmcnt(0)
	v_mul_f64 v[28:29], v[132:133], v[136:137]
	v_mul_f64 v[30:31], v[130:131], v[136:137]
	v_fma_f64 v[22:23], v[116:117], v[122:123], -v[22:23]
	v_fma_f64 v[24:25], v[118:119], v[126:127], v[24:25]
	v_fma_f64 v[26:27], v[120:121], v[126:127], -v[26:27]
	v_fma_f64 v[28:29], v[130:131], v[134:135], v[28:29]
	v_fma_f64 v[30:31], v[132:133], v[134:135], -v[30:31]
	ds_write_b128 v46, v[0:3] offset:1872
	ds_write_b128 v46, v[4:7] offset:2080
	;; [unrolled: 1-line block ×8, first 2 shown]
.LBB0_3:
	s_or_b64 exec, exec, s[14:15]
	s_load_dwordx2 s[0:1], s[4:5], 0x20
	s_load_dwordx2 s[8:9], s[4:5], 0x8
	s_waitcnt lgkmcnt(0)
	s_barrier
	s_waitcnt lgkmcnt(0)
                                        ; implicit-def: $vgpr16_vgpr17
                                        ; implicit-def: $vgpr76_vgpr77
                                        ; implicit-def: $vgpr80_vgpr81
                                        ; implicit-def: $vgpr72_vgpr73
                                        ; implicit-def: $vgpr68_vgpr69
                                        ; implicit-def: $vgpr64_vgpr65
                                        ; implicit-def: $vgpr60_vgpr61
                                        ; implicit-def: $vgpr20_vgpr21
                                        ; implicit-def: $vgpr24_vgpr25
                                        ; implicit-def: $vgpr28_vgpr29
                                        ; implicit-def: $vgpr32_vgpr33
                                        ; implicit-def: $vgpr36_vgpr37
                                        ; implicit-def: $vgpr40_vgpr41
                                        ; implicit-def: $vgpr44_vgpr45
                                        ; implicit-def: $vgpr48_vgpr49
                                        ; implicit-def: $vgpr52_vgpr53
                                        ; implicit-def: $vgpr56_vgpr57
	s_and_saveexec_b64 s[2:3], vcc
	s_cbranch_execz .LBB0_5
; %bb.4:
	v_lshl_add_u32 v0, v140, 4, v255
	ds_read_b128 v[16:19], v0
	ds_read_b128 v[76:79], v0 offset:208
	ds_read_b128 v[80:83], v0 offset:416
	ds_read_b128 v[72:75], v0 offset:624
	ds_read_b128 v[68:71], v0 offset:832
	ds_read_b128 v[64:67], v0 offset:1040
	ds_read_b128 v[60:63], v0 offset:1248
	ds_read_b128 v[20:23], v0 offset:1456
	ds_read_b128 v[24:27], v0 offset:1664
	ds_read_b128 v[28:31], v0 offset:1872
	ds_read_b128 v[32:35], v0 offset:2080
	ds_read_b128 v[36:39], v0 offset:2288
	ds_read_b128 v[40:43], v0 offset:2496
	ds_read_b128 v[44:47], v0 offset:2704
	ds_read_b128 v[48:51], v0 offset:2912
	ds_read_b128 v[52:55], v0 offset:3120
	ds_read_b128 v[56:59], v0 offset:3328
.LBB0_5:
	s_or_b64 exec, exec, s[2:3]
	s_waitcnt lgkmcnt(0)
	v_add_f64 v[203:204], v[78:79], -v[58:59]
	v_add_f64 v[130:131], v[76:77], -v[56:57]
	s_mov_b32 s36, 0x2a9d6da3
	s_mov_b32 s22, 0x7c9e640b
	;; [unrolled: 1-line block ×4, first 2 shown]
	v_add_f64 v[102:103], v[76:77], v[56:57]
	v_add_f64 v[104:105], v[78:79], v[58:59]
	v_mul_f64 v[159:160], v[203:204], s[22:23]
	v_mul_f64 v[155:156], v[130:131], s[36:37]
	v_add_f64 v[157:158], v[80:81], -v[52:53]
	v_add_f64 v[233:234], v[82:83], -v[54:55]
	s_mov_b32 s10, 0x75d4884
	s_mov_b32 s4, 0x2b2883cd
	;; [unrolled: 1-line block ×8, first 2 shown]
	v_fma_f64 v[6:7], v[104:105], s[10:11], -v[155:156]
	v_fma_f64 v[8:9], v[102:103], s[4:5], v[159:160]
	v_add_f64 v[126:127], v[80:81], v[52:53]
	v_add_f64 v[128:129], v[82:83], v[54:55]
	v_mul_f64 v[169:170], v[157:158], s[42:43]
	v_mul_f64 v[173:174], v[233:234], s[24:25]
	s_mov_b32 s14, 0x3259b75e
	s_mov_b32 s16, 0x6ed5f1bb
	;; [unrolled: 1-line block ×4, first 2 shown]
	v_add_f64 v[6:7], v[18:19], v[6:7]
	v_add_f64 v[8:9], v[16:17], v[8:9]
	v_fma_f64 v[86:87], v[128:129], s[14:15], -v[169:170]
	v_fma_f64 v[88:89], v[126:127], s[16:17], v[173:174]
	v_add_f64 v[243:244], v[74:75], -v[50:51]
	v_add_f64 v[187:188], v[72:73], -v[48:49]
	s_mov_b32 s30, 0xacd6c6b4
	s_mov_b32 s31, 0xbfc7851a
	;; [unrolled: 1-line block ×4, first 2 shown]
	v_mul_f64 v[90:91], v[157:158], s[24:25]
	v_add_f64 v[6:7], v[86:87], v[6:7]
	v_add_f64 v[8:9], v[88:89], v[8:9]
	v_mul_f64 v[86:87], v[187:188], s[24:25]
	v_mul_f64 v[88:89], v[243:244], s[46:47]
	buffer_store_dword v90, off, s[60:63], 0 offset:72 ; 4-byte Folded Spill
	s_nop 0
	buffer_store_dword v91, off, s[60:63], 0 offset:76 ; 4-byte Folded Spill
	buffer_store_dword v86, off, s[60:63], 0 offset:56 ; 4-byte Folded Spill
	s_nop 0
	buffer_store_dword v87, off, s[60:63], 0 offset:60 ; 4-byte Folded Spill
	;; [unrolled: 3-line block ×3, first 2 shown]
	v_mul_f64 v[141:142], v[203:204], s[36:37]
	v_mul_f64 v[153:154], v[233:234], s[42:43]
	v_add_f64 v[144:145], v[72:73], v[48:49]
	v_add_f64 v[146:147], v[74:75], v[50:51]
	v_mul_f64 v[167:168], v[243:244], s[24:25]
	s_mov_b32 s20, 0x7faef3
	s_mov_b32 s21, 0xbfef7484
	v_add_f64 v[247:248], v[70:71], -v[46:47]
	v_fma_f64 v[4:5], v[102:103], s[10:11], v[141:142]
	v_fma_f64 v[84:85], v[126:127], s[14:15], v[153:154]
	v_add_f64 v[207:208], v[68:69], -v[44:45]
	s_mov_b32 s48, 0x923c349f
	s_mov_b32 s49, 0x3feec746
	v_mul_f64 v[98:99], v[187:188], s[46:47]
	buffer_store_dword v98, off, s[60:63], 0 offset:160 ; 4-byte Folded Spill
	s_nop 0
	buffer_store_dword v99, off, s[60:63], 0 offset:164 ; 4-byte Folded Spill
	v_add_f64 v[4:5], v[16:17], v[4:5]
	s_mov_b32 s18, 0x5d8e7cdc
	s_mov_b32 s19, 0xbfd71e95
	v_mul_f64 v[94:95], v[130:131], s[18:19]
	s_mov_b32 s2, 0x370991
	s_mov_b32 s3, 0x3fedd6d0
	v_mul_f64 v[150:151], v[157:158], s[36:37]
	v_mul_f64 v[161:162], v[187:188], s[22:23]
	v_add_f64 v[4:5], v[84:85], v[4:5]
	v_fma_f64 v[84:85], v[144:145], s[16:17], v[167:168]
	v_add_f64 v[165:166], v[70:71], v[46:47]
	v_fma_f64 v[2:3], v[104:105], s[2:3], -v[94:95]
	v_mul_f64 v[183:184], v[207:208], s[42:43]
	v_add_f64 v[163:164], v[68:69], v[44:45]
	v_fma_f64 v[14:15], v[128:129], s[10:11], -v[150:151]
	v_add_f64 v[253:254], v[66:67], -v[42:43]
	s_mov_b32 s26, 0xc61f0d01
	v_add_f64 v[4:5], v[84:85], v[4:5]
	v_mul_f64 v[84:85], v[247:248], s[30:31]
	buffer_store_dword v84, off, s[60:63], 0 offset:32 ; 4-byte Folded Spill
	s_nop 0
	buffer_store_dword v85, off, s[60:63], 0 offset:36 ; 4-byte Folded Spill
	v_add_f64 v[2:3], v[18:19], v[2:3]
	s_mov_b32 s27, 0xbfd183b1
	s_mov_b32 s39, 0xbfeec746
	;; [unrolled: 1-line block ×3, first 2 shown]
	v_add_f64 v[223:224], v[64:65], -v[40:41]
	s_mov_b32 s40, 0x4363dd80
	s_mov_b32 s41, 0x3fe0d888
	v_mul_f64 v[171:172], v[130:131], s[22:23]
	v_add_f64 v[2:3], v[14:15], v[2:3]
	v_fma_f64 v[14:15], v[146:147], s[4:5], -v[161:162]
	v_mul_f64 v[92:93], v[203:204], s[18:19]
	v_mul_f64 v[148:149], v[233:234], s[36:37]
	;; [unrolled: 1-line block ×4, first 2 shown]
	v_add_f64 v[177:178], v[64:65], v[40:41]
	v_fma_f64 v[10:11], v[104:105], s[4:5], -v[171:172]
	v_add_f64 v[179:180], v[66:67], v[42:43]
	v_add_f64 v[2:3], v[14:15], v[2:3]
	v_fma_f64 v[14:15], v[165:166], s[14:15], -v[183:184]
	v_fma_f64 v[0:1], v[102:103], s[2:3], v[92:93]
	v_fma_f64 v[12:13], v[126:127], s[10:11], v[148:149]
	v_add_f64 v[132:133], v[62:63], -v[38:39]
	v_add_f64 v[239:240], v[60:61], -v[36:37]
	v_add_f64 v[10:11], v[18:19], v[10:11]
	s_mov_b32 s28, 0x910ea3b9
	v_fma_f64 v[90:91], v[128:129], s[16:17], -v[90:91]
	v_add_f64 v[2:3], v[14:15], v[2:3]
	v_mul_f64 v[14:15], v[253:254], s[38:39]
	v_fma_f64 v[86:87], v[146:147], s[16:17], -v[86:87]
	v_fma_f64 v[88:89], v[144:145], s[20:21], v[88:89]
	v_add_f64 v[0:1], v[16:17], v[0:1]
	s_mov_b32 s29, 0xbfeb34fa
	s_mov_b32 s45, 0x3fe58eea
	v_add_f64 v[10:11], v[90:91], v[10:11]
	v_mul_f64 v[90:91], v[243:244], s[22:23]
	s_mov_b32 s44, s36
	v_add_f64 v[6:7], v[86:87], v[6:7]
	v_add_f64 v[8:9], v[88:89], v[8:9]
	v_mul_f64 v[86:87], v[207:208], s[30:31]
	v_mul_f64 v[88:89], v[247:248], s[48:49]
	buffer_store_dword v86, off, s[60:63], 0 offset:144 ; 4-byte Folded Spill
	s_nop 0
	buffer_store_dword v87, off, s[60:63], 0 offset:148 ; 4-byte Folded Spill
	buffer_store_dword v88, off, s[60:63], 0 offset:192 ; 4-byte Folded Spill
	s_nop 0
	buffer_store_dword v89, off, s[60:63], 0 offset:196 ; 4-byte Folded Spill
	;; [unrolled: 3-line block ×3, first 2 shown]
	v_add_f64 v[0:1], v[12:13], v[0:1]
	v_fma_f64 v[12:13], v[144:145], s[4:5], v[90:91]
	v_mul_f64 v[211:212], v[223:224], s[44:45]
	v_add_f64 v[199:200], v[60:61], v[36:37]
	v_add_f64 v[136:137], v[22:23], -v[34:35]
	s_mov_b32 s53, 0xbfe0d888
	s_mov_b32 s52, s40
	v_mul_f64 v[96:97], v[203:204], s[42:43]
	v_mul_f64 v[191:192], v[253:254], s[44:45]
	v_add_f64 v[0:1], v[12:13], v[0:1]
	v_fma_f64 v[12:13], v[146:147], s[20:21], -v[98:99]
	v_mul_f64 v[98:99], v[132:133], s[48:49]
	v_add_f64 v[201:202], v[62:63], v[38:39]
	v_add_f64 v[245:246], v[20:21], -v[32:33]
	v_mul_f64 v[197:198], v[239:240], s[48:49]
	v_mul_f64 v[195:196], v[132:133], s[18:19]
	v_add_f64 v[217:218], v[20:21], v[32:33]
	v_add_f64 v[221:222], v[22:23], v[34:35]
	;; [unrolled: 1-line block ×3, first 2 shown]
	v_fma_f64 v[12:13], v[163:164], s[14:15], v[175:176]
	v_mul_f64 v[225:226], v[239:240], s[18:19]
	v_mul_f64 v[185:186], v[245:246], s[52:53]
	s_mov_b32 s55, 0x3feca52d
	s_mov_b32 s54, s22
	v_mul_f64 v[219:220], v[245:246], s[54:55]
	v_mul_f64 v[215:216], v[136:137], s[42:43]
	v_add_f64 v[138:139], v[26:27], -v[30:31]
	v_add_f64 v[0:1], v[12:13], v[0:1]
	v_fma_f64 v[12:13], v[165:166], s[26:27], -v[189:190]
	v_fma_f64 v[84:85], v[163:164], s[20:21], v[84:85]
	v_add_f64 v[249:250], v[24:25], -v[28:29]
	v_mul_f64 v[193:194], v[136:137], s[54:55]
	v_add_f64 v[229:230], v[24:25], v[28:29]
	v_add_f64 v[231:232], v[26:27], v[30:31]
	v_mul_f64 v[205:206], v[138:139], s[30:31]
	v_mul_f64 v[241:242], v[245:246], s[42:43]
	v_add_f64 v[10:11], v[12:13], v[10:11]
	v_add_f64 v[4:5], v[84:85], v[4:5]
	v_mul_f64 v[84:85], v[223:224], s[38:39]
	buffer_store_dword v84, off, s[60:63], 0 offset:112 ; 4-byte Folded Spill
	s_nop 0
	buffer_store_dword v85, off, s[60:63], 0 offset:116 ; 4-byte Folded Spill
	v_mul_f64 v[209:210], v[249:250], s[30:31]
	s_mov_b32 s51, 0x3fd71e95
	s_mov_b32 s50, s18
	v_mul_f64 v[213:214], v[138:139], s[50:51]
	v_mul_f64 v[227:228], v[249:250], s[50:51]
	;; [unrolled: 1-line block ×13, first 2 shown]
	s_mov_b32 s59, 0x3fe9895b
	s_mov_b32 s58, s24
	v_mul_f64 v[108:109], v[136:137], s[58:59]
	v_mul_f64 v[124:125], v[245:246], s[58:59]
	;; [unrolled: 1-line block ×4, first 2 shown]
	v_fma_f64 v[86:87], v[165:166], s[20:21], -v[86:87]
	v_fma_f64 v[88:89], v[163:164], s[26:27], v[88:89]
	v_fma_f64 v[12:13], v[177:178], s[26:27], v[14:15]
	v_add_f64 v[6:7], v[86:87], v[6:7]
	v_add_f64 v[8:9], v[88:89], v[8:9]
	v_mul_f64 v[86:87], v[253:254], s[40:41]
	v_mul_f64 v[88:89], v[223:224], s[40:41]
	buffer_store_dword v86, off, s[60:63], 0 offset:128 ; 4-byte Folded Spill
	s_nop 0
	buffer_store_dword v87, off, s[60:63], 0 offset:132 ; 4-byte Folded Spill
	buffer_store_dword v88, off, s[60:63], 0 offset:200 ; 4-byte Folded Spill
	s_nop 0
	buffer_store_dword v89, off, s[60:63], 0 offset:204 ; 4-byte Folded Spill
	v_add_f64 v[0:1], v[12:13], v[0:1]
	v_fma_f64 v[14:15], v[179:180], s[26:27], -v[84:85]
	v_add_f64 v[2:3], v[14:15], v[2:3]
	v_fma_f64 v[14:15], v[177:178], s[10:11], v[191:192]
	v_add_f64 v[8:9], v[14:15], v[8:9]
	v_fma_f64 v[84:85], v[177:178], s[28:29], v[86:87]
	v_fma_f64 v[12:13], v[179:180], s[28:29], -v[88:89]
	v_mul_f64 v[86:87], v[132:133], s[24:25]
	v_mul_f64 v[88:89], v[239:240], s[24:25]
	buffer_store_dword v86, off, s[60:63], 0 offset:168 ; 4-byte Folded Spill
	s_nop 0
	buffer_store_dword v87, off, s[60:63], 0 offset:172 ; 4-byte Folded Spill
	buffer_store_dword v88, off, s[60:63], 0 offset:176 ; 4-byte Folded Spill
	s_nop 0
	buffer_store_dword v89, off, s[60:63], 0 offset:180 ; 4-byte Folded Spill
	;; [unrolled: 3-line block ×3, first 2 shown]
	v_add_f64 v[4:5], v[84:85], v[4:5]
	v_fma_f64 v[84:85], v[179:180], s[10:11], -v[211:212]
	v_add_f64 v[6:7], v[12:13], v[6:7]
	v_add_f64 v[10:11], v[84:85], v[10:11]
	v_fma_f64 v[12:13], v[199:200], s[16:17], v[86:87]
	v_fma_f64 v[14:15], v[201:202], s[16:17], -v[88:89]
	v_fma_f64 v[84:85], v[199:200], s[26:27], v[98:99]
	v_mul_f64 v[98:99], v[136:137], s[52:53]
	buffer_store_dword v98, off, s[60:63], 0 offset:208 ; 4-byte Folded Spill
	s_nop 0
	buffer_store_dword v99, off, s[60:63], 0 offset:212 ; 4-byte Folded Spill
	buffer_store_dword v96, off, s[60:63], 0 offset:40 ; 4-byte Folded Spill
	s_nop 0
	buffer_store_dword v97, off, s[60:63], 0 offset:44 ; 4-byte Folded Spill
	v_fma_f64 v[86:87], v[201:202], s[26:27], -v[197:198]
	v_fma_f64 v[88:89], v[199:200], s[2:3], v[195:196]
	v_add_f64 v[0:1], v[12:13], v[0:1]
	v_add_f64 v[2:3], v[14:15], v[2:3]
	;; [unrolled: 1-line block ×3, first 2 shown]
	v_fma_f64 v[84:85], v[221:222], s[28:29], -v[185:186]
	v_fma_f64 v[12:13], v[201:202], s[2:3], -v[225:226]
	v_add_f64 v[6:7], v[86:87], v[6:7]
	v_add_f64 v[8:9], v[88:89], v[8:9]
	v_fma_f64 v[86:87], v[229:230], s[2:3], v[213:214]
	v_fma_f64 v[88:89], v[231:232], s[2:3], -v[227:228]
	v_add_f64 v[2:3], v[84:85], v[2:3]
	v_fma_f64 v[84:85], v[217:218], s[14:15], v[215:216]
	v_add_f64 v[10:11], v[12:13], v[10:11]
	v_fma_f64 v[12:13], v[217:218], s[4:5], v[193:194]
	v_add_f64 v[8:9], v[84:85], v[8:9]
	v_fma_f64 v[84:85], v[231:232], s[20:21], -v[209:210]
	v_add_f64 v[4:5], v[12:13], v[4:5]
	v_fma_f64 v[12:13], v[221:222], s[14:15], -v[241:242]
	;; [unrolled: 2-line block ×3, first 2 shown]
	v_add_f64 v[10:11], v[12:13], v[10:11]
	v_fma_f64 v[14:15], v[217:218], s[28:29], v[98:99]
	v_fma_f64 v[12:13], v[102:103], s[14:15], v[96:97]
	v_mul_f64 v[96:97], v[130:131], s[42:43]
	v_mul_f64 v[98:99], v[247:248], s[50:51]
	v_add_f64 v[0:1], v[14:15], v[0:1]
	v_fma_f64 v[14:15], v[221:222], s[4:5], -v[219:220]
	v_add_f64 v[12:13], v[16:17], v[12:13]
	v_add_f64 v[6:7], v[14:15], v[6:7]
	v_fma_f64 v[14:15], v[229:230], s[20:21], v[205:206]
	v_add_f64 v[0:1], v[14:15], v[0:1]
	v_fma_f64 v[14:15], v[229:230], s[28:29], v[235:236]
	buffer_store_dword v0, off, s[60:63], 0 ; 4-byte Folded Spill
	s_nop 0
	buffer_store_dword v1, off, s[60:63], 0 offset:4 ; 4-byte Folded Spill
	buffer_store_dword v2, off, s[60:63], 0 offset:8 ; 4-byte Folded Spill
	buffer_store_dword v3, off, s[60:63], 0 offset:12 ; 4-byte Folded Spill
	v_add_f64 v[0:1], v[86:87], v[4:5]
	v_add_f64 v[2:3], v[88:89], v[6:7]
	;; [unrolled: 1-line block ×4, first 2 shown]
	v_fma_f64 v[14:15], v[126:127], s[20:21], v[251:252]
	v_fma_f64 v[84:85], v[104:105], s[14:15], -v[96:97]
	buffer_store_dword v0, off, s[60:63], 0 offset:16 ; 4-byte Folded Spill
	s_nop 0
	buffer_store_dword v1, off, s[60:63], 0 offset:20 ; 4-byte Folded Spill
	buffer_store_dword v2, off, s[60:63], 0 offset:24 ; 4-byte Folded Spill
	;; [unrolled: 1-line block ×3, first 2 shown]
	s_waitcnt vmcnt(0)
	s_barrier
	v_add_f64 v[12:13], v[14:15], v[12:13]
	v_add_f64 v[14:15], v[18:19], v[84:85]
	v_fma_f64 v[84:85], v[128:129], s[20:21], -v[114:115]
	v_add_f64 v[14:15], v[84:85], v[14:15]
	v_fma_f64 v[84:85], v[144:145], s[26:27], v[106:107]
	v_add_f64 v[12:13], v[84:85], v[12:13]
	v_fma_f64 v[84:85], v[146:147], s[26:27], -v[118:119]
	v_add_f64 v[14:15], v[84:85], v[14:15]
	v_fma_f64 v[84:85], v[163:164], s[2:3], v[98:99]
	;; [unrolled: 4-line block ×6, first 2 shown]
	v_add_f64 v[9:10], v[84:85], v[12:13]
	v_fma_f64 v[84:85], v[231:232], s[10:11], -v[134:135]
	v_add_f64 v[11:12], v[84:85], v[14:15]
	s_and_saveexec_b64 s[34:35], vcc
	s_cbranch_execz .LBB0_7
; %bb.6:
	v_mul_f64 v[88:89], v[104:105], s[20:21]
	buffer_store_dword v90, off, s[60:63], 0 offset:232 ; 4-byte Folded Spill
	s_nop 0
	buffer_store_dword v91, off, s[60:63], 0 offset:236 ; 4-byte Folded Spill
	v_mul_f64 v[90:91], v[128:129], s[2:3]
	buffer_store_dword v92, off, s[60:63], 0 offset:240 ; 4-byte Folded Spill
	s_nop 0
	buffer_store_dword v93, off, s[60:63], 0 offset:244 ; 4-byte Folded Spill
	v_mul_f64 v[92:93], v[203:204], s[30:31]
	buffer_store_dword v94, off, s[60:63], 0 offset:264 ; 4-byte Folded Spill
	s_nop 0
	buffer_store_dword v95, off, s[60:63], 0 offset:268 ; 4-byte Folded Spill
	v_mul_f64 v[94:95], v[233:234], s[50:51]
	buffer_store_dword v141, off, s[60:63], 0 offset:248 ; 4-byte Folded Spill
	s_nop 0
	buffer_store_dword v142, off, s[60:63], 0 offset:252 ; 4-byte Folded Spill
	v_fma_f64 v[84:85], v[130:131], s[46:47], v[88:89]
	v_mov_b32_e32 v4, v140
	v_fma_f64 v[86:87], v[157:158], s[18:19], v[90:91]
	buffer_store_dword v148, off, s[60:63], 0 offset:256 ; 4-byte Folded Spill
	s_nop 0
	buffer_store_dword v149, off, s[60:63], 0 offset:260 ; 4-byte Folded Spill
	buffer_store_dword v150, off, s[60:63], 0 offset:272 ; 4-byte Folded Spill
	s_nop 0
	buffer_store_dword v151, off, s[60:63], 0 offset:276 ; 4-byte Folded Spill
	;; [unrolled: 3-line block ×3, first 2 shown]
	v_fma_f64 v[140:141], v[126:127], s[2:3], v[94:95]
	v_fma_f64 v[88:89], v[130:131], s[30:31], v[88:89]
	v_add_f64 v[84:85], v[18:19], v[84:85]
	v_fma_f64 v[90:91], v[157:158], s[50:51], v[90:91]
	buffer_store_dword v155, off, s[60:63], 0 offset:312 ; 4-byte Folded Spill
	s_nop 0
	buffer_store_dword v156, off, s[60:63], 0 offset:316 ; 4-byte Folded Spill
	buffer_store_dword v159, off, s[60:63], 0 offset:328 ; 4-byte Folded Spill
	s_nop 0
	buffer_store_dword v160, off, s[60:63], 0 offset:332 ; 4-byte Folded Spill
	;; [unrolled: 3-line block ×5, first 2 shown]
	v_add_f64 v[88:89], v[18:19], v[88:89]
	v_add_f64 v[84:85], v[86:87], v[84:85]
	v_fma_f64 v[86:87], v[102:103], s[20:21], v[92:93]
	s_mov_b32 s57, 0x3fefdd0d
	s_mov_b32 s56, s42
	buffer_store_dword v173, off, s[60:63], 0 offset:336 ; 4-byte Folded Spill
	s_nop 0
	buffer_store_dword v174, off, s[60:63], 0 offset:340 ; 4-byte Folded Spill
	buffer_store_dword v175, off, s[60:63], 0 offset:304 ; 4-byte Folded Spill
	s_nop 0
	buffer_store_dword v176, off, s[60:63], 0 offset:308 ; 4-byte Folded Spill
	v_mul_f64 v[173:174], v[231:232], s[14:15]
	v_add_f64 v[88:89], v[90:91], v[88:89]
	v_fma_f64 v[90:91], v[102:103], s[20:21], -v[92:93]
	v_add_f64 v[86:87], v[16:17], v[86:87]
	v_fma_f64 v[92:93], v[126:127], s[2:3], -v[94:95]
	v_mul_f64 v[175:176], v[138:139], s[56:57]
	v_mov_b32_e32 v13, v171
	v_mov_b32_e32 v14, v172
	v_add_f64 v[76:77], v[16:17], v[76:77]
	v_add_f64 v[78:79], v[18:19], v[78:79]
	;; [unrolled: 1-line block ×4, first 2 shown]
	v_mul_f64 v[140:141], v[146:147], s[28:29]
	v_fma_f64 v[94:95], v[229:230], s[14:15], -v[175:176]
	v_add_f64 v[80:81], v[76:77], v[80:81]
	v_add_f64 v[82:83], v[78:79], v[82:83]
	;; [unrolled: 1-line block ×3, first 2 shown]
	v_fma_f64 v[142:143], v[187:188], s[40:41], v[140:141]
	v_fma_f64 v[92:93], v[187:188], s[52:53], v[140:141]
	v_mul_f64 v[140:141], v[104:105], s[28:29]
	v_add_f64 v[80:81], v[80:81], v[72:73]
	v_add_f64 v[82:83], v[82:83], v[74:75]
	;; [unrolled: 1-line block ×3, first 2 shown]
	v_mul_f64 v[142:143], v[243:244], s[52:53]
	v_add_f64 v[88:89], v[92:93], v[88:89]
	v_fma_f64 v[76:77], v[130:131], s[52:53], v[140:141]
	v_add_f64 v[80:81], v[80:81], v[68:69]
	v_add_f64 v[82:83], v[82:83], v[70:71]
	v_fma_f64 v[148:149], v[144:145], s[28:29], v[142:143]
	v_fma_f64 v[92:93], v[144:145], s[28:29], -v[142:143]
	v_mul_f64 v[142:143], v[128:129], s[4:5]
	v_add_f64 v[76:77], v[18:19], v[76:77]
	v_add_f64 v[80:81], v[80:81], v[64:65]
	;; [unrolled: 1-line block ×4, first 2 shown]
	v_mul_f64 v[148:149], v[165:166], s[10:11]
	v_add_f64 v[90:91], v[92:93], v[90:91]
	v_fma_f64 v[78:79], v[157:158], s[54:55], v[142:143]
	v_add_f64 v[80:81], v[80:81], v[60:61]
	v_add_f64 v[62:63], v[82:83], v[62:63]
	v_fma_f64 v[150:151], v[207:208], s[36:37], v[148:149]
	v_fma_f64 v[92:93], v[207:208], s[44:45], v[148:149]
	v_mul_f64 v[148:149], v[146:147], s[14:15]
	v_add_f64 v[76:77], v[78:79], v[76:77]
	v_add_f64 v[20:21], v[80:81], v[20:21]
	;; [unrolled: 1-line block ×4, first 2 shown]
	v_mul_f64 v[150:151], v[247:248], s[44:45]
	v_add_f64 v[88:89], v[92:93], v[88:89]
	v_fma_f64 v[78:79], v[187:188], s[42:43], v[148:149]
	v_add_f64 v[20:21], v[20:21], v[24:25]
	v_add_f64 v[22:23], v[22:23], v[26:27]
	v_fma_f64 v[153:154], v[163:164], s[10:11], v[150:151]
	v_fma_f64 v[92:93], v[163:164], s[10:11], -v[150:151]
	v_mul_f64 v[150:151], v[165:166], s[16:17]
	v_add_f64 v[76:77], v[78:79], v[76:77]
	v_add_f64 v[20:21], v[20:21], v[28:29]
	;; [unrolled: 1-line block ×4, first 2 shown]
	v_mul_f64 v[153:154], v[179:180], s[16:17]
	v_add_f64 v[90:91], v[92:93], v[90:91]
	v_fma_f64 v[78:79], v[207:208], s[58:59], v[150:151]
	v_add_f64 v[20:21], v[20:21], v[32:33]
	v_add_f64 v[22:23], v[22:23], v[34:35]
	v_fma_f64 v[155:156], v[223:224], s[58:59], v[153:154]
	v_fma_f64 v[92:93], v[223:224], s[24:25], v[153:154]
	v_mul_f64 v[153:154], v[179:180], s[2:3]
	v_add_f64 v[76:77], v[78:79], v[76:77]
	v_add_f64 v[22:23], v[22:23], v[38:39]
	;; [unrolled: 1-line block ×4, first 2 shown]
	v_mul_f64 v[155:156], v[253:254], s[24:25]
	v_add_f64 v[88:89], v[92:93], v[88:89]
	v_fma_f64 v[78:79], v[223:224], s[18:19], v[153:154]
	v_add_f64 v[22:23], v[22:23], v[42:43]
	v_add_f64 v[20:21], v[20:21], v[40:41]
	v_fma_f64 v[159:160], v[177:178], s[16:17], v[155:156]
	v_add_f64 v[76:77], v[78:79], v[76:77]
	v_add_f64 v[22:23], v[22:23], v[46:47]
	;; [unrolled: 1-line block ×4, first 2 shown]
	v_mul_f64 v[159:160], v[201:202], s[4:5]
	v_add_f64 v[22:23], v[22:23], v[50:51]
	v_add_f64 v[20:21], v[20:21], v[48:49]
	v_fma_f64 v[161:162], v[239:240], s[22:23], v[159:160]
	v_fma_f64 v[92:93], v[239:240], s[54:55], v[159:160]
	v_mul_f64 v[159:160], v[221:222], s[10:11]
	v_add_f64 v[38:39], v[22:23], v[54:55]
	v_add_f64 v[20:21], v[20:21], v[52:53]
	;; [unrolled: 1-line block ×3, first 2 shown]
	v_mul_f64 v[161:162], v[132:133], s[54:55]
	v_add_f64 v[88:89], v[92:93], v[88:89]
	v_fma_f64 v[167:168], v[199:200], s[4:5], v[161:162]
	v_add_f64 v[86:87], v[167:168], v[86:87]
	v_mul_f64 v[167:168], v[221:222], s[26:27]
	v_fma_f64 v[92:93], v[245:246], s[38:39], v[167:168]
	v_fma_f64 v[169:170], v[245:246], s[48:49], v[167:168]
	v_mul_f64 v[167:168], v[233:234], s[54:55]
	v_add_f64 v[88:89], v[92:93], v[88:89]
	v_fma_f64 v[92:93], v[177:178], s[16:17], -v[155:156]
	v_add_f64 v[84:85], v[169:170], v[84:85]
	v_mul_f64 v[169:170], v[136:137], s[38:39]
	v_mul_f64 v[155:156], v[201:202], s[20:21]
	v_add_f64 v[90:91], v[92:93], v[90:91]
	v_fma_f64 v[92:93], v[199:200], s[4:5], -v[161:162]
	v_mul_f64 v[161:162], v[203:204], s[52:53]
	v_fma_f64 v[171:172], v[217:218], s[26:27], v[169:170]
	v_fma_f64 v[78:79], v[239:240], s[30:31], v[155:156]
	v_add_f64 v[90:91], v[92:93], v[90:91]
	v_fma_f64 v[92:93], v[217:218], s[26:27], -v[169:170]
	v_add_f64 v[171:172], v[171:172], v[86:87]
	v_fma_f64 v[86:87], v[249:250], s[42:43], v[173:174]
	v_fma_f64 v[169:170], v[126:127], s[4:5], v[167:168]
	v_add_f64 v[76:77], v[78:79], v[76:77]
	v_fma_f64 v[78:79], v[245:246], s[44:45], v[159:160]
	v_add_f64 v[92:93], v[92:93], v[90:91]
	;; [unrolled: 2-line block ×3, first 2 shown]
	v_fma_f64 v[84:85], v[229:230], s[14:15], v[175:176]
	v_mul_f64 v[86:87], v[136:137], s[44:45]
	v_add_f64 v[76:77], v[78:79], v[76:77]
	v_fma_f64 v[78:79], v[102:103], s[28:29], -v[161:162]
	v_add_f64 v[90:91], v[90:91], v[88:89]
	v_add_f64 v[88:89], v[94:95], v[92:93]
	v_fma_f64 v[92:93], v[130:131], s[40:41], v[140:141]
	v_fma_f64 v[94:95], v[157:158], s[22:23], v[142:143]
	v_add_f64 v[0:1], v[84:85], v[171:172]
	buffer_store_dword v0, off, s[60:63], 0 offset:216 ; 4-byte Folded Spill
	s_nop 0
	buffer_store_dword v1, off, s[60:63], 0 offset:220 ; 4-byte Folded Spill
	buffer_store_dword v2, off, s[60:63], 0 offset:224 ; 4-byte Folded Spill
	;; [unrolled: 1-line block ×3, first 2 shown]
	v_add_f64 v[92:93], v[18:19], v[92:93]
	v_mov_b32_e32 v0, v181
	v_mov_b32_e32 v1, v182
	v_mul_f64 v[181:182], v[231:232], s[26:27]
	v_mov_b32_e32 v2, v183
	v_mov_b32_e32 v3, v184
	v_mul_f64 v[183:184], v[138:139], s[38:39]
	v_add_f64 v[78:79], v[16:17], v[78:79]
	v_add_f64 v[92:93], v[94:95], v[92:93]
	v_fma_f64 v[94:95], v[187:188], s[56:57], v[148:149]
	v_mul_f64 v[140:141], v[146:147], s[2:3]
	v_mul_f64 v[142:143], v[165:166], s[28:29]
	;; [unrolled: 1-line block ×3, first 2 shown]
	v_add_f64 v[92:93], v[94:95], v[92:93]
	v_fma_f64 v[94:95], v[207:208], s[24:25], v[150:151]
	v_mul_f64 v[150:151], v[201:202], s[10:11]
	v_add_f64 v[92:93], v[94:95], v[92:93]
	v_fma_f64 v[94:95], v[223:224], s[50:51], v[153:154]
	v_mul_f64 v[153:154], v[221:222], s[20:21]
	v_add_f64 v[92:93], v[94:95], v[92:93]
	v_fma_f64 v[94:95], v[239:240], s[46:47], v[155:156]
	v_mul_f64 v[155:156], v[203:204], s[24:25]
	v_add_f64 v[92:93], v[94:95], v[92:93]
	v_fma_f64 v[94:95], v[245:246], s[36:37], v[159:160]
	v_mul_f64 v[159:160], v[233:234], s[48:49]
	v_add_f64 v[92:93], v[94:95], v[92:93]
	v_fma_f64 v[94:95], v[102:103], s[28:29], v[161:162]
	v_fma_f64 v[161:162], v[126:127], s[26:27], v[159:160]
	v_add_f64 v[94:95], v[16:17], v[94:95]
	v_add_f64 v[94:95], v[169:170], v[94:95]
	v_mul_f64 v[169:170], v[243:244], s[42:43]
	v_fma_f64 v[171:172], v[144:145], s[14:15], v[169:170]
	v_add_f64 v[94:95], v[171:172], v[94:95]
	v_mul_f64 v[171:172], v[247:248], s[58:59]
	v_fma_f64 v[173:174], v[163:164], s[16:17], v[171:172]
	;; [unrolled: 3-line block ×4, first 2 shown]
	v_add_f64 v[84:85], v[84:85], v[94:95]
	v_fma_f64 v[94:95], v[217:218], s[10:11], v[86:87]
	v_add_f64 v[84:85], v[94:95], v[84:85]
	v_fma_f64 v[94:95], v[249:250], s[48:49], v[181:182]
	;; [unrolled: 2-line block ×3, first 2 shown]
	v_add_f64 v[92:93], v[92:93], v[84:85]
	v_fma_f64 v[84:85], v[126:127], s[4:5], -v[167:168]
	v_add_f64 v[78:79], v[84:85], v[78:79]
	v_fma_f64 v[84:85], v[144:145], s[14:15], -v[169:170]
	;; [unrolled: 2-line block ×6, first 2 shown]
	v_fma_f64 v[86:87], v[229:230], s[26:27], -v[183:184]
	v_mul_f64 v[183:184], v[138:139], s[54:55]
	v_mul_f64 v[138:139], v[138:139], s[24:25]
	v_add_f64 v[84:85], v[84:85], v[78:79]
	v_fma_f64 v[78:79], v[249:250], s[38:39], v[181:182]
	v_mul_f64 v[181:182], v[231:232], s[4:5]
	v_add_f64 v[78:79], v[78:79], v[76:77]
	v_add_f64 v[76:77], v[86:87], v[84:85]
	v_mul_f64 v[84:85], v[104:105], s[16:17]
	v_mul_f64 v[86:87], v[128:129], s[26:27]
	v_fma_f64 v[72:73], v[130:131], s[58:59], v[84:85]
	v_fma_f64 v[74:75], v[157:158], s[38:39], v[86:87]
	v_fma_f64 v[68:69], v[130:131], s[24:25], v[84:85]
	v_fma_f64 v[70:71], v[157:158], s[48:49], v[86:87]
	v_fma_f64 v[84:85], v[126:127], s[26:27], -v[159:160]
	v_fma_f64 v[86:87], v[229:230], s[4:5], -v[183:184]
	v_mul_f64 v[159:160], v[233:234], s[40:41]
	v_add_f64 v[72:73], v[18:19], v[72:73]
	v_add_f64 v[68:69], v[18:19], v[68:69]
	;; [unrolled: 1-line block ×3, first 2 shown]
	v_fma_f64 v[74:75], v[187:188], s[50:51], v[140:141]
	v_add_f64 v[68:69], v[70:71], v[68:69]
	v_fma_f64 v[70:71], v[187:188], s[18:19], v[140:141]
	v_mul_f64 v[140:141], v[146:147], s[10:11]
	v_add_f64 v[72:73], v[74:75], v[72:73]
	v_fma_f64 v[74:75], v[207:208], s[40:41], v[142:143]
	v_add_f64 v[68:69], v[70:71], v[68:69]
	v_fma_f64 v[70:71], v[207:208], s[52:53], v[142:143]
	v_mul_f64 v[142:143], v[165:166], s[4:5]
	v_fma_f64 v[82:83], v[187:188], s[44:45], v[140:141]
	v_add_f64 v[72:73], v[74:75], v[72:73]
	v_fma_f64 v[74:75], v[223:224], s[42:43], v[148:149]
	v_add_f64 v[68:69], v[70:71], v[68:69]
	v_fma_f64 v[70:71], v[223:224], s[56:57], v[148:149]
	v_mul_f64 v[148:149], v[179:180], s[20:21]
	v_add_f64 v[72:73], v[74:75], v[72:73]
	v_fma_f64 v[74:75], v[239:240], s[44:45], v[150:151]
	v_add_f64 v[68:69], v[70:71], v[68:69]
	v_fma_f64 v[70:71], v[239:240], s[36:37], v[150:151]
	v_mul_f64 v[150:151], v[201:202], s[14:15]
	v_add_f64 v[72:73], v[74:75], v[72:73]
	v_fma_f64 v[74:75], v[245:246], s[46:47], v[153:154]
	v_add_f64 v[68:69], v[70:71], v[68:69]
	v_fma_f64 v[70:71], v[245:246], s[30:31], v[153:154]
	v_mul_f64 v[153:154], v[221:222], s[2:3]
	v_add_f64 v[72:73], v[74:75], v[72:73]
	v_fma_f64 v[74:75], v[102:103], s[16:17], v[155:156]
	v_add_f64 v[68:69], v[70:71], v[68:69]
	v_fma_f64 v[70:71], v[102:103], s[16:17], -v[155:156]
	v_mul_f64 v[155:156], v[203:204], s[38:39]
	v_add_f64 v[74:75], v[16:17], v[74:75]
	v_add_f64 v[70:71], v[16:17], v[70:71]
	;; [unrolled: 1-line block ×3, first 2 shown]
	v_mul_f64 v[161:162], v[243:244], s[18:19]
	v_add_f64 v[70:71], v[84:85], v[70:71]
	v_fma_f64 v[167:168], v[144:145], s[2:3], v[161:162]
	v_fma_f64 v[84:85], v[144:145], s[2:3], -v[161:162]
	v_fma_f64 v[161:162], v[126:127], s[28:29], v[159:160]
	v_add_f64 v[74:75], v[167:168], v[74:75]
	v_mul_f64 v[167:168], v[247:248], s[52:53]
	v_add_f64 v[70:71], v[84:85], v[70:71]
	v_fma_f64 v[169:170], v[163:164], s[28:29], v[167:168]
	v_fma_f64 v[84:85], v[163:164], s[28:29], -v[167:168]
	v_add_f64 v[74:75], v[169:170], v[74:75]
	v_mul_f64 v[169:170], v[253:254], s[56:57]
	v_add_f64 v[70:71], v[84:85], v[70:71]
	v_fma_f64 v[171:172], v[177:178], s[14:15], v[169:170]
	v_fma_f64 v[84:85], v[177:178], s[14:15], -v[169:170]
	v_add_f64 v[74:75], v[171:172], v[74:75]
	v_mul_f64 v[171:172], v[132:133], s[36:37]
	v_add_f64 v[70:71], v[84:85], v[70:71]
	v_mul_f64 v[132:133], v[132:133], s[56:57]
	v_fma_f64 v[173:174], v[199:200], s[10:11], v[171:172]
	v_fma_f64 v[84:85], v[199:200], s[10:11], -v[171:172]
	v_add_f64 v[74:75], v[173:174], v[74:75]
	v_mul_f64 v[173:174], v[136:137], s[30:31]
	v_add_f64 v[70:71], v[84:85], v[70:71]
	v_mul_f64 v[136:137], v[136:137], s[18:19]
	v_fma_f64 v[84:85], v[217:218], s[20:21], -v[173:174]
	v_fma_f64 v[175:176], v[217:218], s[20:21], v[173:174]
	v_mul_f64 v[173:174], v[231:232], s[16:17]
	v_add_f64 v[84:85], v[84:85], v[70:71]
	v_fma_f64 v[70:71], v[249:250], s[54:55], v[181:182]
	v_add_f64 v[175:176], v[175:176], v[74:75]
	v_fma_f64 v[74:75], v[249:250], s[22:23], v[181:182]
	v_mov_b32_e32 v182, v1
	v_mov_b32_e32 v181, v0
	buffer_load_dword v0, off, s[60:63], 0 offset:40 ; 4-byte Folded Reload
	buffer_load_dword v1, off, s[60:63], 0 offset:44 ; 4-byte Folded Reload
	v_add_f64 v[70:71], v[70:71], v[68:69]
	v_add_f64 v[68:69], v[86:87], v[84:85]
	v_mul_f64 v[84:85], v[104:105], s[26:27]
	v_mul_f64 v[86:87], v[128:129], s[28:29]
	v_add_f64 v[74:75], v[74:75], v[72:73]
	v_fma_f64 v[72:73], v[229:230], s[4:5], v[183:184]
	v_fma_f64 v[64:65], v[130:131], s[48:49], v[84:85]
	;; [unrolled: 1-line block ×5, first 2 shown]
	v_fma_f64 v[86:87], v[126:127], s[28:29], -v[159:160]
	v_mul_f64 v[130:131], v[144:145], s[4:5]
	v_mul_f64 v[159:160], v[199:200], s[26:27]
	v_mul_f64 v[157:158], v[177:178], s[10:11]
	v_add_f64 v[64:65], v[18:19], v[64:65]
	v_add_f64 v[72:73], v[72:73], v[175:176]
	;; [unrolled: 1-line block ×3, first 2 shown]
	v_mul_f64 v[175:176], v[231:232], s[2:3]
	v_add_f64 v[157:158], v[157:158], -v[191:192]
	v_add_f64 v[64:65], v[66:67], v[64:65]
	v_fma_f64 v[66:67], v[187:188], s[36:37], v[140:141]
	v_add_f64 v[60:61], v[84:85], v[60:61]
	v_fma_f64 v[84:85], v[207:208], s[22:23], v[142:143]
	v_mul_f64 v[140:141], v[146:147], s[16:17]
	v_add_f64 v[64:65], v[66:67], v[64:65]
	v_fma_f64 v[66:67], v[207:208], s[54:55], v[142:143]
	v_add_f64 v[60:61], v[82:83], v[60:61]
	v_fma_f64 v[82:83], v[223:224], s[30:31], v[148:149]
	v_mul_f64 v[142:143], v[163:164], s[14:15]
	;; [unrolled: 5-line block ×4, first 2 shown]
	v_add_f64 v[64:65], v[66:67], v[64:65]
	v_fma_f64 v[66:67], v[245:246], s[50:51], v[153:154]
	v_add_f64 v[60:61], v[84:85], v[60:61]
	v_mul_f64 v[153:154], v[177:178], s[28:29]
	v_fma_f64 v[84:85], v[249:250], s[24:25], v[173:174]
	v_add_f64 v[64:65], v[66:67], v[64:65]
	v_fma_f64 v[66:67], v[102:103], s[26:27], v[155:156]
	v_add_f64 v[60:61], v[82:83], v[60:61]
	v_fma_f64 v[82:83], v[102:103], s[26:27], -v[155:156]
	v_mul_f64 v[155:156], v[179:180], s[28:29]
	v_add_f64 v[66:67], v[16:17], v[66:67]
	v_add_f64 v[60:61], v[84:85], v[60:61]
	;; [unrolled: 1-line block ×4, first 2 shown]
	v_mul_f64 v[161:162], v[243:244], s[44:45]
	v_add_f64 v[82:83], v[86:87], v[82:83]
	v_fma_f64 v[167:168], v[144:145], s[10:11], v[161:162]
	v_fma_f64 v[86:87], v[144:145], s[10:11], -v[161:162]
	v_mul_f64 v[161:162], v[201:202], s[26:27]
	v_add_f64 v[66:67], v[167:168], v[66:67]
	v_mul_f64 v[167:168], v[247:248], s[22:23]
	v_add_f64 v[82:83], v[86:87], v[82:83]
	v_add_f64 v[161:162], v[197:198], v[161:162]
	v_fma_f64 v[169:170], v[163:164], s[4:5], v[167:168]
	v_fma_f64 v[86:87], v[163:164], s[4:5], -v[167:168]
	v_mul_f64 v[167:168], v[221:222], s[4:5]
	v_add_f64 v[66:67], v[169:170], v[66:67]
	v_mul_f64 v[169:170], v[253:254], s[30:31]
	v_add_f64 v[82:83], v[86:87], v[82:83]
	v_fma_f64 v[86:87], v[177:178], s[20:21], -v[169:170]
	v_fma_f64 v[171:172], v[177:178], s[20:21], v[169:170]
	v_mul_f64 v[169:170], v[217:218], s[14:15]
	v_add_f64 v[82:83], v[86:87], v[82:83]
	v_fma_f64 v[86:87], v[199:200], s[14:15], -v[132:133]
	v_add_f64 v[66:67], v[171:172], v[66:67]
	v_fma_f64 v[171:172], v[199:200], s[14:15], v[132:133]
	v_mul_f64 v[132:133], v[144:145], s[20:21]
	v_add_f64 v[80:81], v[169:170], -v[215:216]
	v_add_f64 v[82:83], v[86:87], v[82:83]
	v_fma_f64 v[86:87], v[217:218], s[2:3], -v[136:137]
	v_add_f64 v[66:67], v[171:172], v[66:67]
	v_fma_f64 v[171:172], v[217:218], s[2:3], v[136:137]
	v_mul_f64 v[136:137], v[144:145], s[16:17]
	v_add_f64 v[86:87], v[86:87], v[82:83]
	v_mul_f64 v[82:83], v[146:147], s[26:27]
	v_add_f64 v[171:172], v[171:172], v[66:67]
	v_fma_f64 v[66:67], v[249:250], s[58:59], v[173:174]
	v_mul_f64 v[173:174], v[229:230], s[2:3]
	v_add_f64 v[82:83], v[118:119], v[82:83]
	v_mul_f64 v[118:119], v[104:105], s[14:15]
	v_add_f64 v[66:67], v[66:67], v[64:65]
	v_fma_f64 v[64:65], v[229:230], s[16:17], v[138:139]
	v_add_f64 v[36:37], v[173:174], -v[213:214]
	v_fma_f64 v[138:139], v[229:230], s[16:17], -v[138:139]
	v_add_f64 v[96:97], v[96:97], v[118:119]
	v_mul_f64 v[118:119], v[128:129], s[20:21]
	v_add_f64 v[64:65], v[64:65], v[171:172]
	v_mul_f64 v[171:172], v[229:230], s[20:21]
	v_add_f64 v[96:97], v[18:19], v[96:97]
	v_add_f64 v[114:115], v[114:115], v[118:119]
	v_mul_f64 v[118:119], v[179:180], s[10:11]
	v_add_f64 v[96:97], v[114:115], v[96:97]
	v_mul_f64 v[114:115], v[165:166], s[2:3]
	v_add_f64 v[118:119], v[211:212], v[118:119]
	v_add_f64 v[82:83], v[82:83], v[96:97]
	;; [unrolled: 1-line block ×3, first 2 shown]
	v_mul_f64 v[96:97], v[179:180], s[4:5]
	v_mul_f64 v[116:117], v[126:127], s[20:21]
	v_add_f64 v[82:83], v[114:115], v[82:83]
	v_add_f64 v[96:97], v[120:121], v[96:97]
	v_mul_f64 v[114:115], v[201:202], s[28:29]
	v_add_f64 v[116:117], v[116:117], -v[251:252]
	v_mul_f64 v[120:121], v[201:202], s[2:3]
	v_add_f64 v[82:83], v[96:97], v[82:83]
	v_add_f64 v[114:115], v[122:123], v[114:115]
	v_mul_f64 v[96:97], v[221:222], s[16:17]
	v_mul_f64 v[122:123], v[126:127], s[10:11]
	v_add_f64 v[120:121], v[225:226], v[120:121]
	v_add_f64 v[82:83], v[114:115], v[82:83]
	;; [unrolled: 1-line block ×3, first 2 shown]
	v_mul_f64 v[124:125], v[128:129], s[10:11]
	v_mul_f64 v[114:115], v[231:232], s[10:11]
	v_add_f64 v[82:83], v[96:97], v[82:83]
	v_mul_f64 v[96:97], v[144:145], s[26:27]
	v_add_f64 v[114:115], v[134:135], v[114:115]
	v_mul_f64 v[134:135], v[146:147], s[4:5]
	v_mul_f64 v[144:145], v[165:166], s[14:15]
	v_add_f64 v[96:97], v[96:97], -v[106:107]
	v_mul_f64 v[106:107], v[102:103], s[14:15]
	v_add_f64 v[82:83], v[114:115], v[82:83]
	v_add_f64 v[34:35], v[2:3], v[144:145]
	s_waitcnt vmcnt(0)
	v_add_f64 v[106:107], v[106:107], -v[0:1]
	buffer_load_dword v0, off, s[60:63], 0 offset:72 ; 4-byte Folded Reload
	buffer_load_dword v1, off, s[60:63], 0 offset:76 ; 4-byte Folded Reload
	v_add_f64 v[106:107], v[16:17], v[106:107]
	v_add_f64 v[106:107], v[116:117], v[106:107]
	v_mul_f64 v[116:117], v[163:164], s[2:3]
	v_add_f64 v[96:97], v[96:97], v[106:107]
	v_mul_f64 v[106:107], v[177:178], s[4:5]
	v_add_f64 v[98:99], v[116:117], -v[98:99]
	v_mul_f64 v[116:117], v[217:218], s[16:17]
	v_mul_f64 v[177:178], v[229:230], s[28:29]
	v_add_f64 v[106:107], v[106:107], -v[110:111]
	v_mul_f64 v[110:111], v[199:200], s[28:29]
	v_add_f64 v[96:97], v[98:99], v[96:97]
	v_add_f64 v[108:109], v[116:117], -v[108:109]
	v_mul_f64 v[98:99], v[104:105], s[4:5]
	v_mul_f64 v[116:117], v[229:230], s[10:11]
	v_add_f64 v[62:63], v[177:178], -v[235:236]
	v_add_f64 v[110:111], v[110:111], -v[112:113]
	v_mul_f64 v[112:113], v[128:129], s[16:17]
	v_add_f64 v[96:97], v[106:107], v[96:97]
	v_mul_f64 v[106:107], v[146:147], s[20:21]
	v_add_f64 v[98:99], v[13:14], v[98:99]
	v_mul_f64 v[128:129], v[128:129], s[14:15]
	v_mul_f64 v[146:147], v[163:164], s[20:21]
	v_add_f64 v[100:101], v[116:117], -v[100:101]
	v_mul_f64 v[116:117], v[221:222], s[14:15]
	v_add_f64 v[96:97], v[110:111], v[96:97]
	v_mul_f64 v[110:111], v[104:105], s[2:3]
	v_add_f64 v[98:99], v[18:19], v[98:99]
	;; [unrolled: 2-line block ×3, first 2 shown]
	v_add_f64 v[96:97], v[108:109], v[96:97]
	v_mul_f64 v[108:109], v[163:164], s[26:27]
	v_mul_f64 v[163:164], v[199:200], s[2:3]
	v_add_f64 v[114:115], v[163:164], -v[195:196]
	s_waitcnt vmcnt(0)
	v_add_f64 v[112:113], v[0:1], v[112:113]
	buffer_load_dword v0, off, s[60:63], 0 offset:160 ; 4-byte Folded Reload
	buffer_load_dword v1, off, s[60:63], 0 offset:164 ; 4-byte Folded Reload
	v_add_f64 v[98:99], v[112:113], v[98:99]
	v_mul_f64 v[112:113], v[165:166], s[26:27]
	v_mul_f64 v[165:166], v[221:222], s[28:29]
	v_add_f64 v[112:113], v[189:190], v[112:113]
	s_waitcnt vmcnt(0)
	v_add_f64 v[106:107], v[0:1], v[106:107]
	buffer_load_dword v0, off, s[60:63], 0 offset:192 ; 4-byte Folded Reload
	buffer_load_dword v1, off, s[60:63], 0 offset:196 ; 4-byte Folded Reload
	v_add_f64 v[98:99], v[106:107], v[98:99]
	v_mul_f64 v[106:107], v[102:103], s[2:3]
	v_add_f64 v[98:99], v[112:113], v[98:99]
	v_mul_f64 v[112:113], v[102:103], s[10:11]
	v_mul_f64 v[102:103], v[102:103], s[4:5]
	v_add_f64 v[98:99], v[118:119], v[98:99]
	v_mul_f64 v[118:119], v[126:127], s[14:15]
	;; [unrolled: 3-line block ×3, first 2 shown]
	v_add_f64 v[98:99], v[116:117], v[98:99]
	v_add_f64 v[116:117], v[219:220], v[167:168]
	;; [unrolled: 1-line block ×3, first 2 shown]
	s_waitcnt vmcnt(0)
	v_add_f64 v[108:109], v[108:109], -v[0:1]
	buffer_load_dword v0, off, s[60:63], 0 offset:328 ; 4-byte Folded Reload
	buffer_load_dword v1, off, s[60:63], 0 offset:332 ; 4-byte Folded Reload
	s_waitcnt vmcnt(0)
	v_add_f64 v[102:103], v[102:103], -v[0:1]
	buffer_load_dword v0, off, s[60:63], 0 offset:312 ; 4-byte Folded Reload
	buffer_load_dword v1, off, s[60:63], 0 offset:316 ; 4-byte Folded Reload
	v_add_f64 v[102:103], v[16:17], v[102:103]
	s_waitcnt vmcnt(0)
	v_add_f64 v[104:105], v[0:1], v[104:105]
	buffer_load_dword v0, off, s[60:63], 0 offset:336 ; 4-byte Folded Reload
	buffer_load_dword v1, off, s[60:63], 0 offset:340 ; 4-byte Folded Reload
	v_add_f64 v[104:105], v[18:19], v[104:105]
	s_waitcnt vmcnt(0)
	v_add_f64 v[126:127], v[126:127], -v[0:1]
	buffer_load_dword v0, off, s[60:63], 0 offset:88 ; 4-byte Folded Reload
	buffer_load_dword v1, off, s[60:63], 0 offset:92 ; 4-byte Folded Reload
	v_add_f64 v[102:103], v[126:127], v[102:103]
	v_mul_f64 v[126:127], v[179:180], s[26:27]
	s_waitcnt vmcnt(0)
	v_add_f64 v[132:133], v[132:133], -v[0:1]
	buffer_load_dword v0, off, s[60:63], 0 offset:320 ; 4-byte Folded Reload
	buffer_load_dword v1, off, s[60:63], 0 offset:324 ; 4-byte Folded Reload
	v_add_f64 v[102:103], v[132:133], v[102:103]
	v_mul_f64 v[132:133], v[201:202], s[16:17]
	v_add_f64 v[102:103], v[108:109], v[102:103]
	v_mul_f64 v[108:109], v[217:218], s[4:5]
	v_add_f64 v[102:103], v[157:158], v[102:103]
	v_add_f64 v[102:103], v[114:115], v[102:103]
	;; [unrolled: 1-line block ×3, first 2 shown]
	s_waitcnt vmcnt(0)
	v_add_f64 v[128:129], v[0:1], v[128:129]
	buffer_load_dword v0, off, s[60:63], 0 offset:56 ; 4-byte Folded Reload
	buffer_load_dword v1, off, s[60:63], 0 offset:60 ; 4-byte Folded Reload
	v_add_f64 v[104:105], v[128:129], v[104:105]
	v_mul_f64 v[128:129], v[199:200], s[16:17]
	s_waitcnt vmcnt(0)
	v_add_f64 v[140:141], v[0:1], v[140:141]
	buffer_load_dword v0, off, s[60:63], 0 offset:144 ; 4-byte Folded Reload
	buffer_load_dword v1, off, s[60:63], 0 offset:148 ; 4-byte Folded Reload
	v_add_f64 v[104:105], v[140:141], v[104:105]
	v_mul_f64 v[140:141], v[217:218], s[28:29]
	;; [unrolled: 6-line block ×3, first 2 shown]
	s_waitcnt vmcnt(0)
	v_add_f64 v[155:156], v[0:1], v[155:156]
	buffer_load_dword v0, off, s[60:63], 0 offset:264 ; 4-byte Folded Reload
	buffer_load_dword v1, off, s[60:63], 0 offset:268 ; 4-byte Folded Reload
	v_add_f64 v[104:105], v[155:156], v[104:105]
	v_add_f64 v[104:105], v[161:162], v[104:105]
	;; [unrolled: 1-line block ×4, first 2 shown]
	s_waitcnt vmcnt(0)
	v_add_f64 v[110:111], v[0:1], v[110:111]
	buffer_load_dword v0, off, s[60:63], 0 offset:240 ; 4-byte Folded Reload
	buffer_load_dword v1, off, s[60:63], 0 offset:244 ; 4-byte Folded Reload
	v_add_f64 v[18:19], v[18:19], v[110:111]
	s_waitcnt vmcnt(0)
	v_add_f64 v[24:25], v[106:107], -v[0:1]
	buffer_load_dword v0, off, s[60:63], 0 offset:248 ; 4-byte Folded Reload
	buffer_load_dword v1, off, s[60:63], 0 offset:252 ; 4-byte Folded Reload
	v_add_f64 v[24:25], v[16:17], v[24:25]
	s_waitcnt vmcnt(0)
	v_add_f64 v[26:27], v[112:113], -v[0:1]
	;; [unrolled: 5-line block ×3, first 2 shown]
	buffer_load_dword v0, off, s[60:63], 0 offset:272 ; 4-byte Folded Reload
	buffer_load_dword v1, off, s[60:63], 0 offset:276 ; 4-byte Folded Reload
	v_add_f64 v[16:17], v[106:107], v[16:17]
	s_waitcnt vmcnt(0)
	v_add_f64 v[112:113], v[0:1], v[124:125]
	buffer_load_dword v0, off, s[60:63], 0 offset:256 ; 4-byte Folded Reload
	buffer_load_dword v1, off, s[60:63], 0 offset:260 ; 4-byte Folded Reload
	v_add_f64 v[18:19], v[112:113], v[18:19]
	s_waitcnt vmcnt(0)
	v_add_f64 v[110:111], v[122:123], -v[0:1]
	buffer_load_dword v0, off, s[60:63], 0 offset:296 ; 4-byte Folded Reload
	buffer_load_dword v1, off, s[60:63], 0 offset:300 ; 4-byte Folded Reload
	v_add_f64 v[24:25], v[110:111], v[24:25]
	s_waitcnt vmcnt(0)
	v_add_f64 v[26:27], v[136:137], -v[0:1]
	buffer_load_dword v0, off, s[60:63], 0 offset:288 ; 4-byte Folded Reload
	buffer_load_dword v1, off, s[60:63], 0 offset:292 ; 4-byte Folded Reload
	v_add_f64 v[16:17], v[26:27], v[16:17]
	s_waitcnt vmcnt(0)
	v_add_f64 v[28:29], v[0:1], v[134:135]
	buffer_load_dword v0, off, s[60:63], 0 offset:232 ; 4-byte Folded Reload
	buffer_load_dword v1, off, s[60:63], 0 offset:236 ; 4-byte Folded Reload
	v_add_f64 v[18:19], v[28:29], v[18:19]
	v_add_f64 v[18:19], v[34:35], v[18:19]
	s_waitcnt vmcnt(0)
	v_add_f64 v[30:31], v[130:131], -v[0:1]
	buffer_load_dword v0, off, s[60:63], 0 offset:32 ; 4-byte Folded Reload
	buffer_load_dword v1, off, s[60:63], 0 offset:36 ; 4-byte Folded Reload
	v_add_f64 v[24:25], v[30:31], v[24:25]
	s_waitcnt vmcnt(0)
	v_add_f64 v[32:33], v[146:147], -v[0:1]
	buffer_load_dword v0, off, s[60:63], 0 offset:304 ; 4-byte Folded Reload
	buffer_load_dword v1, off, s[60:63], 0 offset:308 ; 4-byte Folded Reload
	;; [unrolled: 5-line block ×4, first 2 shown]
	v_add_f64 v[16:17], v[26:27], v[16:17]
	v_add_f64 v[26:27], v[108:109], -v[193:194]
	s_waitcnt vmcnt(0)
	v_add_f64 v[30:31], v[0:1], v[126:127]
	buffer_load_dword v0, off, s[60:63], 0 offset:96 ; 4-byte Folded Reload
	buffer_load_dword v1, off, s[60:63], 0 offset:100 ; 4-byte Folded Reload
	v_add_f64 v[18:19], v[30:31], v[18:19]
	s_waitcnt vmcnt(0)
	v_add_f64 v[34:35], v[150:151], -v[0:1]
	buffer_load_dword v0, off, s[60:63], 0 offset:184 ; 4-byte Folded Reload
	buffer_load_dword v1, off, s[60:63], 0 offset:188 ; 4-byte Folded Reload
	v_add_f64 v[24:25], v[34:35], v[24:25]
	v_add_f64 v[34:35], v[185:186], v[165:166]
	s_waitcnt vmcnt(0)
	v_add_f64 v[28:29], v[159:160], -v[0:1]
	buffer_load_dword v0, off, s[60:63], 0 offset:176 ; 4-byte Folded Reload
	buffer_load_dword v1, off, s[60:63], 0 offset:180 ; 4-byte Folded Reload
	v_add_f64 v[16:17], v[28:29], v[16:17]
	v_add_f64 v[28:29], v[209:210], v[148:149]
	;; [unrolled: 1-line block ×3, first 2 shown]
	s_waitcnt vmcnt(0)
	v_add_f64 v[32:33], v[0:1], v[132:133]
	buffer_load_dword v0, off, s[60:63], 0 offset:168 ; 4-byte Folded Reload
	buffer_load_dword v1, off, s[60:63], 0 offset:172 ; 4-byte Folded Reload
	v_add_f64 v[18:19], v[32:33], v[18:19]
	s_waitcnt vmcnt(0)
	v_add_f64 v[30:31], v[128:129], -v[0:1]
	buffer_load_dword v0, off, s[60:63], 0 offset:208 ; 4-byte Folded Reload
	buffer_load_dword v1, off, s[60:63], 0 offset:212 ; 4-byte Folded Reload
	v_add_f64 v[24:25], v[30:31], v[24:25]
	v_add_f64 v[30:31], v[34:35], v[18:19]
	v_add_f64 v[34:35], v[171:172], -v[205:206]
	v_add_f64 v[18:19], v[84:85], v[98:99]
	v_add_f64 v[26:27], v[28:29], v[30:31]
	;; [unrolled: 1-line block ×6, first 2 shown]
	s_waitcnt vmcnt(0)
	v_add_f64 v[32:33], v[140:141], -v[0:1]
	v_mov_b32_e32 v140, v4
	v_mul_lo_u16_e32 v0, 17, v181
	v_add_lshl_u32 v0, v140, v0, 4
	v_add_f64 v[24:25], v[32:33], v[24:25]
	v_add_f64 v[32:33], v[80:81], v[102:103]
	;; [unrolled: 1-line block ×5, first 2 shown]
	ds_write_b128 v0, v[28:31]
	ds_write_b128 v0, v[24:27] offset:16
	ds_write_b128 v0, v[20:23] offset:32
	;; [unrolled: 1-line block ×8, first 2 shown]
	buffer_load_dword v1, off, s[60:63], 0 offset:216 ; 4-byte Folded Reload
	buffer_load_dword v2, off, s[60:63], 0 offset:220 ; 4-byte Folded Reload
	buffer_load_dword v3, off, s[60:63], 0 offset:224 ; 4-byte Folded Reload
	buffer_load_dword v4, off, s[60:63], 0 offset:228 ; 4-byte Folded Reload
	s_waitcnt vmcnt(0)
	ds_write_b128 v0, v[1:4] offset:144
	ds_write_b128 v0, v[92:95] offset:160
	;; [unrolled: 1-line block ×6, first 2 shown]
	buffer_load_dword v1, off, s[60:63], 0 offset:16 ; 4-byte Folded Reload
	buffer_load_dword v2, off, s[60:63], 0 offset:20 ; 4-byte Folded Reload
	;; [unrolled: 1-line block ×4, first 2 shown]
	s_waitcnt vmcnt(0)
	ds_write_b128 v0, v[1:4] offset:240
	buffer_load_dword v1, off, s[60:63], 0  ; 4-byte Folded Reload
	buffer_load_dword v2, off, s[60:63], 0 offset:4 ; 4-byte Folded Reload
	buffer_load_dword v3, off, s[60:63], 0 offset:8 ; 4-byte Folded Reload
	;; [unrolled: 1-line block ×3, first 2 shown]
	s_waitcnt vmcnt(0)
	ds_write_b128 v0, v[1:4] offset:256
.LBB0_7:
	s_or_b64 exec, exec, s[34:35]
	v_mul_u32_u24_e32 v0, 12, v181
	v_lshlrev_b32_e32 v0, 4, v0
	s_load_dwordx4 s[0:3], s[0:1], 0x0
	s_waitcnt lgkmcnt(0)
	s_barrier
	global_load_dwordx4 v[60:63], v0, s[8:9]
	global_load_dwordx4 v[56:59], v0, s[8:9] offset:16
	global_load_dwordx4 v[187:190], v0, s[8:9] offset:32
	;; [unrolled: 1-line block ×11, first 2 shown]
	v_add_lshl_u32 v218, v140, v181, 4
	ds_read_b128 v[76:79], v218
	ds_read_b128 v[64:67], v218 offset:272
	ds_read_b128 v[68:71], v218 offset:544
	;; [unrolled: 1-line block ×12, first 2 shown]
	s_mov_b32 s19, 0xbfddbe06
	s_mov_b32 s18, 0x4267c47c
	s_mov_b32 s14, 0xe00740e9
	s_mov_b32 s26, 0x42a4c3d2
	s_mov_b32 s34, 0x66966769
	s_mov_b32 s16, 0x2ef20147
	s_mov_b32 s22, 0x24c2f84
	s_mov_b32 s28, 0x4bc48dbf
	s_mov_b32 s15, 0x3fec55a7
	s_mov_b32 s27, 0xbfea55e2
	s_mov_b32 s35, 0xbfefc445
	s_mov_b32 s17, 0xbfedeba7
	s_mov_b32 s23, 0xbfe5384d
	s_mov_b32 s29, 0xbfcea1e5
	s_mov_b32 s10, 0xb2365da1
	s_mov_b32 s11, 0xbfd6b1d8
	s_mov_b32 s8, 0x1ea71119
	s_mov_b32 s4, 0xebaa3ed8
	s_mov_b32 s20, 0xd0032e0c
	s_mov_b32 s24, 0x93053d00
	s_mov_b32 s9, 0x3fe22d96
	s_mov_b32 s5, 0x3fbedb7d
	s_mov_b32 s21, 0xbfe7f3cc
	s_mov_b32 s25, 0xbfef11f4
	s_mov_b32 s37, 0x3fe5384d
	s_mov_b32 s36, s22
	s_mov_b32 s31, 0x3fefc445
	s_mov_b32 s30, s34
	s_mov_b32 s39, 0x3fedeba7
	s_mov_b32 s38, s16
	v_lshl_add_u32 v217, v181, 4, v182
	s_waitcnt vmcnt(11) lgkmcnt(11)
	v_mul_f64 v[116:117], v[66:67], v[62:63]
	v_mul_f64 v[118:119], v[64:65], v[62:63]
	s_waitcnt vmcnt(10) lgkmcnt(10)
	v_mul_f64 v[120:121], v[70:71], v[58:59]
	v_mul_f64 v[122:123], v[68:69], v[58:59]
	s_waitcnt vmcnt(9) lgkmcnt(9)
	v_mul_f64 v[126:127], v[72:73], v[189:190]
	s_waitcnt vmcnt(6) lgkmcnt(6)
	;; [unrolled: 2-line block ×4, first 2 shown]
	v_mul_f64 v[144:145], v[98:99], v[179:180]
	v_fma_f64 v[64:65], v[64:65], v[60:61], -v[116:117]
	v_fma_f64 v[66:67], v[66:67], v[60:61], v[118:119]
	v_mul_f64 v[124:125], v[74:75], v[189:190]
	v_mul_f64 v[138:139], v[88:89], v[34:35]
	;; [unrolled: 1-line block ×4, first 2 shown]
	v_fma_f64 v[116:117], v[68:69], v[56:57], -v[120:121]
	v_fma_f64 v[118:119], v[70:71], v[56:57], v[122:123]
	v_fma_f64 v[122:123], v[74:75], v[187:188], v[126:127]
	v_fma_f64 v[68:69], v[88:89], v[32:33], -v[136:137]
	v_fma_f64 v[74:75], v[94:95], v[183:184], v[142:143]
	v_fma_f64 v[88:89], v[96:97], v[177:178], -v[144:145]
	v_add_f64 v[94:95], v[76:77], v[64:65]
	v_add_f64 v[96:97], v[78:79], v[66:67]
	v_mul_f64 v[128:129], v[82:83], v[26:27]
	v_mul_f64 v[130:131], v[80:81], v[26:27]
	v_fma_f64 v[120:121], v[72:73], v[187:188], -v[124:125]
	v_mul_f64 v[132:133], v[86:87], v[54:55]
	v_mul_f64 v[134:135], v[84:85], v[54:55]
	s_waitcnt vmcnt(3) lgkmcnt(3)
	v_mul_f64 v[148:149], v[102:103], v[50:51]
	v_add_f64 v[94:95], v[94:95], v[116:117]
	v_add_f64 v[96:97], v[96:97], v[118:119]
	v_fma_f64 v[80:81], v[80:81], v[24:25], -v[128:129]
	v_fma_f64 v[82:83], v[82:83], v[24:25], v[130:131]
	v_mul_f64 v[150:151], v[100:101], v[50:51]
	v_fma_f64 v[84:85], v[84:85], v[52:53], -v[132:133]
	v_fma_f64 v[86:87], v[86:87], v[52:53], v[134:135]
	s_waitcnt vmcnt(0) lgkmcnt(0)
	v_mul_f64 v[161:162], v[114:115], v[46:47]
	v_add_f64 v[94:95], v[94:95], v[120:121]
	v_add_f64 v[96:97], v[96:97], v[122:123]
	v_mul_f64 v[163:164], v[112:113], v[46:47]
	v_fma_f64 v[70:71], v[90:91], v[32:33], v[138:139]
	v_fma_f64 v[72:73], v[92:93], v[183:184], -v[140:141]
	v_fma_f64 v[90:91], v[98:99], v[177:178], v[146:147]
	v_fma_f64 v[92:93], v[100:101], v[48:49], -v[148:149]
	v_fma_f64 v[98:99], v[102:103], v[48:49], v[150:151]
	v_add_f64 v[94:95], v[94:95], v[80:81]
	v_add_f64 v[96:97], v[96:97], v[82:83]
	v_fma_f64 v[100:101], v[112:113], v[44:45], -v[161:162]
	v_fma_f64 v[102:103], v[114:115], v[44:45], v[163:164]
	v_mul_f64 v[153:154], v[106:107], v[42:43]
	v_mul_f64 v[155:156], v[104:105], v[42:43]
	v_mul_f64 v[157:158], v[110:111], v[38:39]
	v_mul_f64 v[159:160], v[108:109], v[38:39]
	v_add_f64 v[94:95], v[94:95], v[84:85]
	v_add_f64 v[96:97], v[96:97], v[86:87]
	;; [unrolled: 1-line block ×4, first 2 shown]
	v_add_f64 v[66:67], v[66:67], -v[102:103]
	v_add_f64 v[64:65], v[64:65], -v[100:101]
	v_fma_f64 v[104:105], v[104:105], v[40:41], -v[153:154]
	v_fma_f64 v[106:107], v[106:107], v[40:41], v[155:156]
	v_add_f64 v[94:95], v[94:95], v[68:69]
	v_add_f64 v[96:97], v[96:97], v[70:71]
	v_fma_f64 v[108:109], v[108:109], v[36:37], -v[157:158]
	v_fma_f64 v[110:111], v[110:111], v[36:37], v[159:160]
	v_mul_f64 v[128:129], v[66:67], s[18:19]
	v_mul_f64 v[130:131], v[64:65], s[18:19]
	;; [unrolled: 1-line block ×4, first 2 shown]
	v_add_f64 v[94:95], v[94:95], v[72:73]
	v_add_f64 v[96:97], v[96:97], v[74:75]
	v_mul_f64 v[136:137], v[66:67], s[34:35]
	v_mul_f64 v[138:139], v[64:65], s[34:35]
	;; [unrolled: 1-line block ×6, first 2 shown]
	v_add_f64 v[94:95], v[94:95], v[88:89]
	v_add_f64 v[96:97], v[96:97], v[90:91]
	v_mul_f64 v[148:149], v[66:67], s[28:29]
	v_mul_f64 v[150:151], v[64:65], s[28:29]
	v_fma_f64 v[64:65], v[112:113], s[14:15], -v[128:129]
	v_fma_f64 v[66:67], v[114:115], s[14:15], v[130:131]
	v_add_f64 v[124:125], v[116:117], v[108:109]
	v_add_f64 v[126:127], v[118:119], v[110:111]
	;; [unrolled: 1-line block ×4, first 2 shown]
	v_add_f64 v[116:117], v[116:117], -v[108:109]
	v_add_f64 v[118:119], v[118:119], -v[110:111]
	v_add_f64 v[171:172], v[76:77], v[64:65]
	v_add_f64 v[173:174], v[78:79], v[66:67]
	v_fma_f64 v[163:164], v[112:113], s[10:11], -v[140:141]
	v_fma_f64 v[128:129], v[112:113], s[14:15], v[128:129]
	v_add_f64 v[64:65], v[94:95], v[104:105]
	v_add_f64 v[66:67], v[96:97], v[106:107]
	v_fma_f64 v[130:131], v[114:115], s[14:15], -v[130:131]
	v_mul_f64 v[153:154], v[118:119], s[26:27]
	v_fma_f64 v[155:156], v[112:113], s[8:9], -v[132:133]
	v_fma_f64 v[157:158], v[114:115], s[8:9], v[134:135]
	v_fma_f64 v[132:133], v[112:113], s[8:9], v[132:133]
	v_fma_f64 v[134:135], v[114:115], s[8:9], -v[134:135]
	v_add_f64 v[64:65], v[64:65], v[108:109]
	v_add_f64 v[66:67], v[66:67], v[110:111]
	v_fma_f64 v[159:160], v[112:113], s[4:5], -v[136:137]
	v_fma_f64 v[161:162], v[114:115], s[4:5], v[138:139]
	v_fma_f64 v[136:137], v[112:113], s[4:5], v[136:137]
	v_fma_f64 v[138:139], v[114:115], s[4:5], -v[138:139]
	v_fma_f64 v[165:166], v[114:115], s[10:11], v[142:143]
	v_fma_f64 v[140:141], v[112:113], s[10:11], v[140:141]
	v_fma_f64 v[142:143], v[114:115], s[10:11], -v[142:143]
	v_fma_f64 v[167:168], v[112:113], s[20:21], -v[144:145]
	v_fma_f64 v[169:170], v[114:115], s[20:21], v[146:147]
	v_fma_f64 v[144:145], v[112:113], s[20:21], v[144:145]
	v_fma_f64 v[146:147], v[114:115], s[20:21], -v[146:147]
	v_add_f64 v[108:109], v[76:77], v[163:164]
	v_add_f64 v[64:65], v[64:65], v[100:101]
	;; [unrolled: 1-line block ×3, first 2 shown]
	v_mul_f64 v[100:101], v[116:117], s[26:27]
	v_fma_f64 v[102:103], v[112:113], s[24:25], -v[148:149]
	v_fma_f64 v[163:164], v[114:115], s[24:25], v[150:151]
	v_fma_f64 v[112:113], v[112:113], s[24:25], v[148:149]
	v_fma_f64 v[114:115], v[114:115], s[24:25], -v[150:151]
	v_add_f64 v[128:129], v[76:77], v[128:129]
	v_add_f64 v[130:131], v[78:79], v[130:131]
	;; [unrolled: 1-line block ×17, first 2 shown]
	v_fma_f64 v[148:149], v[124:125], s[8:9], -v[153:154]
	v_fma_f64 v[150:151], v[126:127], s[8:9], v[100:101]
	v_add_f64 v[102:103], v[76:77], v[102:103]
	v_add_f64 v[163:164], v[78:79], v[163:164]
	v_add_f64 v[76:77], v[76:77], v[112:113]
	v_add_f64 v[78:79], v[78:79], v[114:115]
	v_mul_f64 v[112:113], v[118:119], s[16:17]
	v_mul_f64 v[114:115], v[116:117], s[16:17]
	;; [unrolled: 1-line block ×4, first 2 shown]
	v_add_f64 v[148:149], v[148:149], v[171:172]
	v_add_f64 v[150:151], v[150:151], v[173:174]
	v_fma_f64 v[100:101], v[126:127], s[8:9], -v[100:101]
	v_fma_f64 v[153:154], v[124:125], s[8:9], v[153:154]
	v_fma_f64 v[169:170], v[124:125], s[10:11], -v[112:113]
	v_fma_f64 v[171:172], v[126:127], s[10:11], v[114:115]
	v_fma_f64 v[112:113], v[124:125], s[10:11], v[112:113]
	v_fma_f64 v[114:115], v[126:127], s[10:11], -v[114:115]
	v_fma_f64 v[173:174], v[124:125], s[24:25], -v[165:166]
	v_fma_f64 v[175:176], v[126:127], s[24:25], v[167:168]
	v_add_f64 v[100:101], v[100:101], v[130:131]
	v_add_f64 v[128:129], v[153:154], v[128:129]
	v_add_f64 v[130:131], v[169:170], v[155:156]
	v_mul_f64 v[155:156], v[118:119], s[30:31]
	v_add_f64 v[94:95], v[112:113], v[94:95]
	v_add_f64 v[96:97], v[114:115], v[96:97]
	;; [unrolled: 1-line block ×4, first 2 shown]
	v_mul_f64 v[132:133], v[118:119], s[36:37]
	v_mul_f64 v[134:135], v[116:117], s[36:37]
	v_add_f64 v[153:154], v[171:172], v[157:158]
	v_fma_f64 v[173:174], v[124:125], s[4:5], -v[155:156]
	v_fma_f64 v[157:158], v[124:125], s[24:25], v[165:166]
	v_fma_f64 v[165:166], v[126:127], s[24:25], -v[167:168]
	v_mul_f64 v[167:168], v[116:117], s[30:31]
	s_mov_b32 s19, 0x3fddbe06
	v_fma_f64 v[169:170], v[124:125], s[20:21], -v[132:133]
	v_fma_f64 v[171:172], v[126:127], s[20:21], v[134:135]
	v_fma_f64 v[132:133], v[124:125], s[20:21], v[132:133]
	v_fma_f64 v[134:135], v[126:127], s[20:21], -v[134:135]
	v_add_f64 v[136:137], v[157:158], v[136:137]
	v_mul_f64 v[118:119], v[118:119], s[18:19]
	v_fma_f64 v[157:158], v[126:127], s[4:5], v[167:168]
	v_mul_f64 v[116:117], v[116:117], s[18:19]
	v_add_f64 v[138:139], v[165:166], v[138:139]
	v_fma_f64 v[155:156], v[124:125], s[4:5], v[155:156]
	v_add_f64 v[132:133], v[132:133], v[140:141]
	v_add_f64 v[134:135], v[134:135], v[142:143]
	;; [unrolled: 1-line block ×3, first 2 shown]
	v_add_f64 v[142:143], v[122:123], -v[106:107]
	v_add_f64 v[159:160], v[120:121], -v[104:105]
	v_add_f64 v[104:105], v[120:121], v[104:105]
	v_add_f64 v[106:107], v[122:123], v[106:107]
	;; [unrolled: 1-line block ×3, first 2 shown]
	v_fma_f64 v[161:162], v[126:127], s[4:5], -v[167:168]
	v_fma_f64 v[165:166], v[124:125], s[14:15], -v[118:119]
	v_fma_f64 v[167:168], v[126:127], s[14:15], v[116:117]
	v_mul_f64 v[120:121], v[142:143], s[34:35]
	v_mul_f64 v[122:123], v[159:160], s[34:35]
	v_fma_f64 v[118:119], v[124:125], s[14:15], v[118:119]
	v_fma_f64 v[116:117], v[126:127], s[14:15], -v[116:117]
	v_add_f64 v[144:145], v[155:156], v[144:145]
	v_add_f64 v[146:147], v[161:162], v[146:147]
	;; [unrolled: 1-line block ×4, first 2 shown]
	v_fma_f64 v[124:125], v[104:105], s[4:5], -v[120:121]
	v_fma_f64 v[126:127], v[106:107], s[4:5], v[122:123]
	v_add_f64 v[76:77], v[118:119], v[76:77]
	v_add_f64 v[78:79], v[116:117], v[78:79]
	v_fma_f64 v[122:123], v[106:107], s[4:5], -v[122:123]
	v_fma_f64 v[120:121], v[104:105], s[4:5], v[120:121]
	v_add_f64 v[110:111], v[171:172], v[110:111]
	v_add_f64 v[102:103], v[165:166], v[102:103]
	;; [unrolled: 1-line block ×4, first 2 shown]
	v_mul_f64 v[124:125], v[142:143], s[28:29]
	v_mul_f64 v[126:127], v[159:160], s[28:29]
	;; [unrolled: 1-line block ×4, first 2 shown]
	v_add_f64 v[100:101], v[122:123], v[100:101]
	v_add_f64 v[120:121], v[120:121], v[128:129]
	v_fma_f64 v[161:162], v[104:105], s[24:25], -v[124:125]
	v_fma_f64 v[163:164], v[106:107], s[24:25], v[126:127]
	v_fma_f64 v[124:125], v[104:105], s[24:25], v[124:125]
	v_fma_f64 v[126:127], v[106:107], s[24:25], -v[126:127]
	v_fma_f64 v[122:123], v[104:105], s[10:11], -v[148:149]
	v_fma_f64 v[128:129], v[106:107], s[10:11], v[150:151]
	v_add_f64 v[130:131], v[161:162], v[130:131]
	v_add_f64 v[153:154], v[163:164], v[153:154]
	;; [unrolled: 1-line block ×4, first 2 shown]
	v_mul_f64 v[124:125], v[142:143], s[18:19]
	v_mul_f64 v[126:127], v[159:160], s[18:19]
	v_add_f64 v[112:113], v[122:123], v[112:113]
	v_fma_f64 v[122:123], v[104:105], s[10:11], v[148:149]
	v_mul_f64 v[148:149], v[142:143], s[26:27]
	v_add_f64 v[114:115], v[128:129], v[114:115]
	v_fma_f64 v[128:129], v[106:107], s[10:11], -v[150:151]
	v_mul_f64 v[150:151], v[159:160], s[26:27]
	v_fma_f64 v[161:162], v[104:105], s[14:15], -v[124:125]
	v_fma_f64 v[163:164], v[106:107], s[14:15], v[126:127]
	v_fma_f64 v[124:125], v[104:105], s[14:15], v[124:125]
	v_fma_f64 v[126:127], v[106:107], s[14:15], -v[126:127]
	v_add_f64 v[122:123], v[122:123], v[136:137]
	v_fma_f64 v[136:137], v[104:105], s[8:9], -v[148:149]
	v_add_f64 v[128:129], v[128:129], v[138:139]
	v_fma_f64 v[138:139], v[106:107], s[8:9], v[150:151]
	v_fma_f64 v[148:149], v[104:105], s[8:9], v[148:149]
	v_fma_f64 v[150:151], v[106:107], s[8:9], -v[150:151]
	v_add_f64 v[124:125], v[124:125], v[132:133]
	v_add_f64 v[126:127], v[126:127], v[134:135]
	v_mul_f64 v[132:133], v[142:143], s[22:23]
	v_mul_f64 v[134:135], v[159:160], s[22:23]
	v_add_f64 v[136:137], v[136:137], v[140:141]
	v_add_f64 v[140:141], v[82:83], -v[98:99]
	v_add_f64 v[142:143], v[80:81], -v[92:93]
	v_add_f64 v[138:139], v[138:139], v[157:158]
	v_add_f64 v[80:81], v[80:81], v[92:93]
	;; [unrolled: 1-line block ×3, first 2 shown]
	v_fma_f64 v[157:158], v[104:105], s[20:21], -v[132:133]
	v_fma_f64 v[159:160], v[106:107], s[20:21], v[134:135]
	v_fma_f64 v[104:105], v[104:105], s[20:21], v[132:133]
	v_mul_f64 v[92:93], v[140:141], s[16:17]
	v_mul_f64 v[98:99], v[142:143], s[16:17]
	v_fma_f64 v[106:107], v[106:107], s[20:21], -v[134:135]
	v_add_f64 v[132:133], v[148:149], v[144:145]
	v_add_f64 v[134:135], v[150:151], v[146:147]
	;; [unrolled: 1-line block ×5, first 2 shown]
	v_fma_f64 v[146:147], v[80:81], s[10:11], -v[92:93]
	v_fma_f64 v[148:149], v[82:83], s[10:11], v[98:99]
	v_add_f64 v[78:79], v[106:107], v[78:79]
	v_mul_f64 v[104:105], v[140:141], s[36:37]
	v_mul_f64 v[106:107], v[142:143], s[36:37]
	v_fma_f64 v[92:93], v[80:81], s[10:11], v[92:93]
	v_fma_f64 v[98:99], v[82:83], s[10:11], -v[98:99]
	s_mov_b32 s37, 0x3fcea1e5
	v_add_f64 v[116:117], v[146:147], v[116:117]
	v_add_f64 v[118:119], v[148:149], v[118:119]
	v_mul_f64 v[146:147], v[140:141], s[18:19]
	v_mul_f64 v[148:149], v[142:143], s[18:19]
	v_fma_f64 v[150:151], v[80:81], s[20:21], -v[104:105]
	v_fma_f64 v[155:156], v[82:83], s[20:21], v[106:107]
	v_add_f64 v[92:93], v[92:93], v[120:121]
	v_add_f64 v[98:99], v[98:99], v[100:101]
	v_fma_f64 v[100:101], v[80:81], s[20:21], v[104:105]
	v_fma_f64 v[104:105], v[82:83], s[20:21], -v[106:107]
	v_fma_f64 v[106:107], v[80:81], s[14:15], -v[146:147]
	v_fma_f64 v[120:121], v[82:83], s[14:15], v[148:149]
	v_add_f64 v[130:131], v[150:151], v[130:131]
	v_add_f64 v[150:151], v[155:156], v[153:154]
	v_mul_f64 v[153:154], v[140:141], s[34:35]
	v_mul_f64 v[155:156], v[142:143], s[34:35]
	s_mov_b32 s36, s28
	v_add_f64 v[110:111], v[163:164], v[110:111]
	v_add_f64 v[94:95], v[100:101], v[94:95]
	;; [unrolled: 1-line block ×5, first 2 shown]
	v_fma_f64 v[106:107], v[80:81], s[14:15], v[146:147]
	v_fma_f64 v[112:113], v[82:83], s[14:15], -v[148:149]
	v_fma_f64 v[114:115], v[80:81], s[4:5], -v[153:154]
	v_fma_f64 v[120:121], v[82:83], s[4:5], v[155:156]
	v_mul_f64 v[146:147], v[140:141], s[36:37]
	v_mul_f64 v[148:149], v[142:143], s[36:37]
	v_fma_f64 v[153:154], v[80:81], s[4:5], v[153:154]
	v_fma_f64 v[155:156], v[82:83], s[4:5], -v[155:156]
	s_mov_b32 s35, 0x3fea55e2
	s_mov_b32 s34, s26
	v_add_f64 v[108:109], v[114:115], v[108:109]
	v_add_f64 v[110:111], v[120:121], v[110:111]
	v_fma_f64 v[114:115], v[80:81], s[24:25], -v[146:147]
	v_fma_f64 v[120:121], v[82:83], s[24:25], v[148:149]
	v_add_f64 v[106:107], v[106:107], v[122:123]
	v_add_f64 v[112:113], v[112:113], v[128:129]
	;; [unrolled: 1-line block ×4, first 2 shown]
	v_mul_f64 v[126:127], v[140:141], s[34:35]
	v_mul_f64 v[128:129], v[142:143], s[34:35]
	v_add_f64 v[114:115], v[114:115], v[136:137]
	v_add_f64 v[120:121], v[120:121], v[138:139]
	v_add_f64 v[136:137], v[86:87], -v[90:91]
	v_add_f64 v[138:139], v[84:85], -v[88:89]
	v_fma_f64 v[140:141], v[80:81], s[24:25], v[146:147]
	v_fma_f64 v[142:143], v[82:83], s[24:25], -v[148:149]
	v_fma_f64 v[146:147], v[80:81], s[8:9], -v[126:127]
	v_fma_f64 v[148:149], v[82:83], s[8:9], v[128:129]
	v_add_f64 v[84:85], v[84:85], v[88:89]
	v_add_f64 v[86:87], v[86:87], v[90:91]
	v_mul_f64 v[88:89], v[136:137], s[22:23]
	v_mul_f64 v[90:91], v[138:139], s[22:23]
	v_fma_f64 v[80:81], v[80:81], s[8:9], v[126:127]
	v_fma_f64 v[82:83], v[82:83], s[8:9], -v[128:129]
	v_add_f64 v[126:127], v[140:141], v[132:133]
	v_add_f64 v[128:129], v[142:143], v[134:135]
	;; [unrolled: 1-line block ×4, first 2 shown]
	v_fma_f64 v[134:135], v[84:85], s[20:21], -v[88:89]
	v_fma_f64 v[140:141], v[86:87], s[20:21], v[90:91]
	v_add_f64 v[76:77], v[80:81], v[76:77]
	v_add_f64 v[78:79], v[82:83], v[78:79]
	v_mul_f64 v[80:81], v[136:137], s[30:31]
	v_mul_f64 v[82:83], v[138:139], s[30:31]
	v_fma_f64 v[88:89], v[84:85], s[20:21], v[88:89]
	v_fma_f64 v[90:91], v[86:87], s[20:21], -v[90:91]
	v_add_f64 v[116:117], v[134:135], v[116:117]
	v_add_f64 v[118:119], v[140:141], v[118:119]
	v_mul_f64 v[134:135], v[136:137], s[26:27]
	v_mul_f64 v[140:141], v[138:139], s[26:27]
	v_fma_f64 v[142:143], v[84:85], s[4:5], -v[80:81]
	v_fma_f64 v[144:145], v[86:87], s[4:5], v[82:83]
	v_fma_f64 v[82:83], v[86:87], s[4:5], -v[82:83]
	v_add_f64 v[102:103], v[146:147], v[102:103]
	v_add_f64 v[88:89], v[88:89], v[92:93]
	;; [unrolled: 1-line block ×3, first 2 shown]
	v_fma_f64 v[80:81], v[84:85], s[4:5], v[80:81]
	v_fma_f64 v[92:93], v[84:85], s[8:9], -v[134:135]
	v_fma_f64 v[98:99], v[86:87], s[8:9], v[140:141]
	v_add_f64 v[130:131], v[142:143], v[130:131]
	v_add_f64 v[142:143], v[144:145], v[150:151]
	v_mul_f64 v[144:145], v[136:137], s[36:37]
	v_mul_f64 v[146:147], v[138:139], s[36:37]
	v_add_f64 v[82:83], v[82:83], v[96:97]
	v_fma_f64 v[96:97], v[84:85], s[8:9], v[134:135]
	v_mul_f64 v[134:135], v[136:137], s[18:19]
	v_add_f64 v[80:81], v[80:81], v[94:95]
	v_add_f64 v[92:93], v[92:93], v[100:101]
	;; [unrolled: 1-line block ×3, first 2 shown]
	v_fma_f64 v[98:99], v[86:87], s[8:9], -v[140:141]
	v_fma_f64 v[100:101], v[84:85], s[24:25], -v[144:145]
	v_fma_f64 v[104:105], v[86:87], s[24:25], v[146:147]
	v_mul_f64 v[140:141], v[138:139], s[18:19]
	v_fma_f64 v[144:145], v[84:85], s[24:25], v[144:145]
	v_add_f64 v[96:97], v[96:97], v[106:107]
	v_fma_f64 v[106:107], v[84:85], s[14:15], -v[134:135]
	v_fma_f64 v[146:147], v[86:87], s[24:25], -v[146:147]
	v_add_f64 v[98:99], v[98:99], v[112:113]
	v_add_f64 v[100:101], v[100:101], v[108:109]
	;; [unrolled: 1-line block ×3, first 2 shown]
	v_fma_f64 v[108:109], v[86:87], s[14:15], v[140:141]
	v_add_f64 v[110:111], v[144:145], v[122:123]
	v_fma_f64 v[122:123], v[84:85], s[14:15], v[134:135]
	v_mul_f64 v[134:135], v[136:137], s[16:17]
	v_add_f64 v[106:107], v[106:107], v[114:115]
	v_add_f64 v[114:115], v[70:71], -v[74:75]
	v_add_f64 v[112:113], v[146:147], v[124:125]
	v_fma_f64 v[124:125], v[86:87], s[14:15], -v[140:141]
	v_mul_f64 v[136:137], v[138:139], s[16:17]
	v_add_f64 v[108:109], v[108:109], v[120:121]
	v_add_f64 v[120:121], v[68:69], -v[72:73]
	v_add_f64 v[122:123], v[122:123], v[126:127]
	v_fma_f64 v[126:127], v[84:85], s[10:11], -v[134:135]
	v_add_f64 v[138:139], v[68:69], v[72:73]
	v_mul_f64 v[68:69], v[114:115], s[28:29]
	v_add_f64 v[124:125], v[124:125], v[128:129]
	v_fma_f64 v[128:129], v[86:87], s[10:11], v[136:137]
	v_add_f64 v[140:141], v[70:71], v[74:75]
	v_mul_f64 v[70:71], v[120:121], s[28:29]
	v_fma_f64 v[72:73], v[84:85], s[10:11], v[134:135]
	v_fma_f64 v[74:75], v[86:87], s[10:11], -v[136:137]
	v_add_f64 v[126:127], v[126:127], v[102:103]
	v_mul_f64 v[84:85], v[114:115], s[18:19]
	v_fma_f64 v[102:103], v[138:139], s[24:25], -v[68:69]
	v_add_f64 v[128:129], v[128:129], v[132:133]
	v_mul_f64 v[86:87], v[120:121], s[18:19]
	v_fma_f64 v[132:133], v[140:141], s[24:25], v[70:71]
	v_add_f64 v[134:135], v[72:73], v[76:77]
	v_add_f64 v[136:137], v[74:75], v[78:79]
	v_fma_f64 v[72:73], v[138:139], s[24:25], v[68:69]
	v_fma_f64 v[74:75], v[140:141], s[24:25], -v[70:71]
	v_fma_f64 v[144:145], v[138:139], s[14:15], -v[84:85]
	v_add_f64 v[68:69], v[102:103], v[116:117]
	v_mul_f64 v[102:103], v[114:115], s[22:23]
	v_mul_f64 v[116:117], v[120:121], s[22:23]
	v_fma_f64 v[146:147], v[140:141], s[14:15], v[86:87]
	v_add_f64 v[70:71], v[132:133], v[118:119]
	v_add_f64 v[76:77], v[72:73], v[88:89]
	;; [unrolled: 1-line block ×4, first 2 shown]
	v_fma_f64 v[84:85], v[138:139], s[14:15], v[84:85]
	v_fma_f64 v[86:87], v[140:141], s[14:15], -v[86:87]
	v_fma_f64 v[88:89], v[138:139], s[20:21], -v[102:103]
	v_fma_f64 v[90:91], v[140:141], s[20:21], v[116:117]
	v_mul_f64 v[118:119], v[114:115], s[34:35]
	v_mul_f64 v[130:131], v[120:121], s[34:35]
	v_fma_f64 v[102:103], v[138:139], s[20:21], v[102:103]
	v_fma_f64 v[116:117], v[140:141], s[20:21], -v[116:117]
	v_add_f64 v[84:85], v[84:85], v[80:81]
	v_add_f64 v[86:87], v[86:87], v[82:83]
	;; [unrolled: 1-line block ×4, first 2 shown]
	v_fma_f64 v[92:93], v[138:139], s[8:9], -v[118:119]
	v_fma_f64 v[94:95], v[140:141], s[8:9], v[130:131]
	v_add_f64 v[88:89], v[102:103], v[96:97]
	v_add_f64 v[90:91], v[116:117], v[98:99]
	v_fma_f64 v[96:97], v[138:139], s[8:9], v[118:119]
	v_fma_f64 v[98:99], v[140:141], s[8:9], -v[130:131]
	v_mul_f64 v[102:103], v[114:115], s[16:17]
	v_mul_f64 v[116:117], v[120:121], s[16:17]
	v_add_f64 v[92:93], v[92:93], v[100:101]
	v_add_f64 v[94:95], v[94:95], v[104:105]
	v_mul_f64 v[100:101], v[114:115], s[30:31]
	v_mul_f64 v[104:105], v[120:121], s[30:31]
	v_add_f64 v[96:97], v[96:97], v[110:111]
	v_add_f64 v[98:99], v[98:99], v[112:113]
	v_fma_f64 v[110:111], v[138:139], s[10:11], -v[102:103]
	v_fma_f64 v[112:113], v[140:141], s[10:11], v[116:117]
	v_fma_f64 v[114:115], v[138:139], s[10:11], v[102:103]
	v_fma_f64 v[116:117], v[140:141], s[10:11], -v[116:117]
	v_fma_f64 v[118:119], v[138:139], s[4:5], -v[100:101]
	v_fma_f64 v[120:121], v[140:141], s[4:5], v[104:105]
	v_fma_f64 v[130:131], v[138:139], s[4:5], v[100:101]
	v_fma_f64 v[132:133], v[140:141], s[4:5], -v[104:105]
	v_add_f64 v[74:75], v[146:147], v[142:143]
	v_add_f64 v[100:101], v[110:111], v[106:107]
	;; [unrolled: 1-line block ×9, first 2 shown]
	ds_write_b128 v217, v[64:67]
	ds_write_b128 v217, v[68:71] offset:272
	ds_write_b128 v217, v[72:75] offset:544
	;; [unrolled: 1-line block ×12, first 2 shown]
	s_waitcnt lgkmcnt(0)
	s_barrier
	s_and_saveexec_b64 s[4:5], vcc
	s_cbranch_execz .LBB0_9
; %bb.8:
	global_load_dwordx4 v[120:123], v255, s[6:7] offset:3536
	ds_read_b128 v[116:119], v217
	s_add_u32 s8, s6, 0xdd0
	s_addc_u32 s9, s7, 0
	s_waitcnt vmcnt(0) lgkmcnt(0)
	v_mul_f64 v[124:125], v[118:119], v[122:123]
	v_fma_f64 v[124:125], v[116:117], v[120:121], -v[124:125]
	v_mul_f64 v[116:117], v[116:117], v[122:123]
	v_fma_f64 v[126:127], v[118:119], v[120:121], v[116:117]
	global_load_dwordx4 v[120:123], v255, s[8:9] offset:208
	ds_read_b128 v[116:119], v217 offset:208
	ds_write_b128 v217, v[124:127]
	s_waitcnt vmcnt(0) lgkmcnt(1)
	v_mul_f64 v[124:125], v[118:119], v[122:123]
	v_fma_f64 v[124:125], v[116:117], v[120:121], -v[124:125]
	v_mul_f64 v[116:117], v[116:117], v[122:123]
	v_fma_f64 v[126:127], v[118:119], v[120:121], v[116:117]
	global_load_dwordx4 v[120:123], v255, s[8:9] offset:416
	ds_read_b128 v[116:119], v217 offset:416
	ds_write_b128 v217, v[124:127] offset:208
	s_waitcnt vmcnt(0) lgkmcnt(1)
	v_mul_f64 v[124:125], v[118:119], v[122:123]
	v_fma_f64 v[124:125], v[116:117], v[120:121], -v[124:125]
	v_mul_f64 v[116:117], v[116:117], v[122:123]
	v_fma_f64 v[126:127], v[118:119], v[120:121], v[116:117]
	global_load_dwordx4 v[120:123], v255, s[8:9] offset:624
	ds_read_b128 v[116:119], v217 offset:624
	ds_write_b128 v217, v[124:127] offset:416
	;; [unrolled: 8-line block ×15, first 2 shown]
	s_waitcnt vmcnt(0) lgkmcnt(1)
	v_mul_f64 v[124:125], v[118:119], v[122:123]
	v_fma_f64 v[124:125], v[116:117], v[120:121], -v[124:125]
	v_mul_f64 v[116:117], v[116:117], v[122:123]
	v_fma_f64 v[126:127], v[118:119], v[120:121], v[116:117]
	ds_write_b128 v217, v[124:127] offset:3328
.LBB0_9:
	s_or_b64 exec, exec, s[4:5]
	s_waitcnt lgkmcnt(0)
	s_barrier
	s_and_saveexec_b64 s[4:5], vcc
	s_cbranch_execz .LBB0_11
; %bb.10:
	ds_read_b128 v[64:67], v217
	ds_read_b128 v[68:71], v217 offset:208
	ds_read_b128 v[72:75], v217 offset:416
	;; [unrolled: 1-line block ×15, first 2 shown]
	s_waitcnt lgkmcnt(0)
	buffer_store_dword v0, off, s[60:63], 0 offset:16 ; 4-byte Folded Spill
	s_nop 0
	buffer_store_dword v1, off, s[60:63], 0 offset:20 ; 4-byte Folded Spill
	buffer_store_dword v2, off, s[60:63], 0 offset:24 ; 4-byte Folded Spill
	;; [unrolled: 1-line block ×3, first 2 shown]
	ds_read_b128 v[0:3], v217 offset:3328
	s_waitcnt lgkmcnt(0)
	buffer_store_dword v0, off, s[60:63], 0 ; 4-byte Folded Spill
	s_nop 0
	buffer_store_dword v1, off, s[60:63], 0 offset:4 ; 4-byte Folded Spill
	buffer_store_dword v2, off, s[60:63], 0 offset:8 ; 4-byte Folded Spill
	;; [unrolled: 1-line block ×3, first 2 shown]
.LBB0_11:
	s_or_b64 exec, exec, s[4:5]
	s_waitcnt vmcnt(0)
	s_barrier
	s_and_saveexec_b64 s[4:5], vcc
	s_cbranch_execz .LBB0_13
; %bb.12:
	buffer_load_dword v193, off, s[60:63], 0 ; 4-byte Folded Reload
	buffer_load_dword v194, off, s[60:63], 0 offset:4 ; 4-byte Folded Reload
	buffer_load_dword v195, off, s[60:63], 0 offset:8 ; 4-byte Folded Reload
	;; [unrolled: 1-line block ×7, first 2 shown]
	s_mov_b32 s16, 0xacd6c6b4
	s_mov_b32 s17, 0xbfc7851a
	;; [unrolled: 1-line block ×4, first 2 shown]
	v_add_f64 v[0:1], v[108:109], -v[96:97]
	s_mov_b32 s39, 0x3fd71e95
	s_mov_b32 s9, 0xbfef7484
	v_add_f64 v[175:176], v[80:81], -v[5:6]
	s_mov_b32 s50, 0xeb564b22
	s_mov_b32 s22, 0x4363dd80
	;; [unrolled: 1-line block ×4, first 2 shown]
	v_mov_b32_e32 v16, v1
	s_mov_b32 s23, 0xbfe0d888
	s_mov_b32 s19, 0x3fedd6d0
	v_mul_f64 v[116:117], v[0:1], s[50:51]
	v_mov_b32_e32 v15, v0
	v_add_f64 v[0:1], v[92:93], -v[9:10]
	v_mul_f64 v[124:125], v[175:176], s[22:23]
	v_add_f64 v[169:170], v[82:83], v[7:8]
	s_mov_b32 s46, 0x2a9d6da3
	s_mov_b32 s10, 0x910ea3b9
	s_mov_b32 s47, 0x3fe58eea
	s_mov_b32 s11, 0xbfeb34fa
	v_add_f64 v[17:18], v[100:101], -v[76:77]
	v_mul_f64 v[128:129], v[0:1], s[46:47]
	v_add_f64 v[165:166], v[94:95], v[11:12]
	v_fma_f64 v[130:131], v[169:170], s[10:11], v[124:125]
	s_mov_b32 s24, 0x6c9a05f6
	s_mov_b32 s20, 0x75d4884
	;; [unrolled: 1-line block ×4, first 2 shown]
	v_add_f64 v[2:3], v[104:105], -v[84:85]
	v_add_f64 v[163:164], v[102:103], v[78:79]
	v_fma_f64 v[132:133], v[165:166], s[20:21], v[128:129]
	s_mov_b32 s42, 0x7c9e640b
	s_mov_b32 s14, 0x6ed5f1bb
	;; [unrolled: 1-line block ×4, first 2 shown]
	v_add_f64 v[161:162], v[106:107], v[86:87]
	s_mov_b32 s34, 0x2b2883cd
	s_mov_b32 s35, 0x3fdc86fa
	buffer_store_dword v183, off, s[60:63], 0 offset:56 ; 4-byte Folded Spill
	s_nop 0
	buffer_store_dword v184, off, s[60:63], 0 offset:60 ; 4-byte Folded Spill
	buffer_store_dword v185, off, s[60:63], 0 offset:64 ; 4-byte Folded Spill
	;; [unrolled: 1-line block ×4, first 2 shown]
	s_nop 0
	buffer_store_dword v188, off, s[60:63], 0 offset:76 ; 4-byte Folded Spill
	buffer_store_dword v189, off, s[60:63], 0 offset:80 ; 4-byte Folded Spill
	buffer_store_dword v190, off, s[60:63], 0 offset:84 ; 4-byte Folded Spill
	v_add_f64 v[173:174], v[82:83], -v[7:8]
	buffer_store_dword v181, off, s[60:63], 0 offset:32 ; 4-byte Folded Spill
	buffer_store_dword v182, off, s[60:63], 0 offset:88 ; 4-byte Folded Spill
	v_add_f64 v[155:156], v[94:95], -v[11:12]
	v_add_f64 v[191:192], v[80:81], v[5:6]
	v_add_f64 v[211:212], v[102:103], -v[78:79]
	v_add_f64 v[205:206], v[92:93], v[9:10]
	buffer_store_dword v177, off, s[60:63], 0 offset:40 ; 4-byte Folded Spill
	s_nop 0
	buffer_store_dword v178, off, s[60:63], 0 offset:44 ; 4-byte Folded Spill
	buffer_store_dword v179, off, s[60:63], 0 offset:48 ; 4-byte Folded Spill
	;; [unrolled: 1-line block ×3, first 2 shown]
	v_add_f64 v[179:180], v[106:107], -v[86:87]
	v_mul_f64 v[142:143], v[173:174], s[22:23]
	v_fma_f64 v[124:125], v[169:170], s[10:11], -v[124:125]
	v_mul_f64 v[146:147], v[155:156], s[46:47]
	v_add_f64 v[203:204], v[100:101], v[76:77]
	v_add_f64 v[13:14], v[112:113], -v[88:89]
	v_add_f64 v[157:158], v[114:115], -v[90:91]
	v_fma_f64 v[128:129], v[165:166], s[20:21], -v[128:129]
	v_add_f64 v[201:202], v[104:105], v[84:85]
	v_fma_f64 v[148:149], v[191:192], s[10:11], -v[142:143]
	s_mov_b32 s26, 0x923c349f
	s_mov_b32 s27, 0xbfeec746
	v_add_f64 v[159:160], v[114:115], v[90:91]
	v_add_f64 v[189:190], v[110:111], -v[98:99]
	v_add_f64 v[199:200], v[112:113], v[88:89]
	s_mov_b32 s28, 0xc61f0d01
	s_mov_b32 s29, 0xbfd183b1
	v_add_f64 v[153:154], v[110:111], v[98:99]
	v_add_f64 v[197:198], v[108:109], v[96:97]
	s_mov_b32 s30, 0x3259b75e
	s_mov_b32 s31, 0x3fb79ee6
	;; [unrolled: 1-line block ×4, first 2 shown]
	v_mul_f64 v[150:151], v[175:176], s[40:41]
	s_mov_b32 s55, 0x3fe9895b
	s_mov_b32 s54, s24
	;; [unrolled: 1-line block ×3, first 2 shown]
	s_waitcnt vmcnt(20)
	v_add_f64 v[215:216], v[68:69], -v[193:194]
	s_waitcnt vmcnt(16)
	v_add_f64 v[213:214], v[72:73], -v[207:208]
	v_add_f64 v[171:172], v[70:71], v[195:196]
	s_waitcnt vmcnt(14)
	v_add_f64 v[167:168], v[74:75], v[209:210]
	v_add_f64 v[21:22], v[70:71], -v[195:196]
	v_add_f64 v[19:20], v[74:75], -v[209:210]
	v_add_f64 v[183:184], v[68:69], v[193:194]
	v_add_f64 v[181:182], v[72:73], v[207:208]
	v_mul_f64 v[118:119], v[215:216], s[16:17]
	v_mul_f64 v[120:121], v[213:214], s[38:39]
	v_fma_f64 v[229:230], v[169:170], s[30:31], v[150:151]
	s_mov_b32 s36, s38
	v_mov_b32_e32 v29, v22
	v_mov_b32_e32 v31, v20
	;; [unrolled: 1-line block ×4, first 2 shown]
	v_fma_f64 v[122:123], v[171:172], s[8:9], v[118:119]
	v_fma_f64 v[126:127], v[167:168], s[18:19], v[120:121]
	v_fma_f64 v[118:119], v[171:172], s[8:9], -v[118:119]
	v_fma_f64 v[120:121], v[167:168], s[18:19], -v[120:121]
	v_mul_f64 v[223:224], v[30:31], s[42:43]
	v_fma_f64 v[150:151], v[169:170], s[30:31], -v[150:151]
	s_mov_b32 s53, 0x3feec746
	s_mov_b32 s52, s26
	v_add_f64 v[122:123], v[66:67], v[122:123]
	v_mul_f64 v[235:236], v[0:1], s[22:23]
	v_add_f64 v[118:119], v[66:67], v[118:119]
	v_mul_f64 v[239:240], v[173:174], s[36:37]
	v_fma_f64 v[231:232], v[181:182], s[34:35], -v[223:224]
	v_fma_f64 v[223:224], v[181:182], s[34:35], v[223:224]
	s_mov_b32 s45, 0xbfe58eea
	s_mov_b32 s44, s46
	v_add_f64 v[122:123], v[126:127], v[122:123]
	v_mul_f64 v[126:127], v[17:18], s[24:25]
	v_add_f64 v[118:119], v[120:121], v[118:119]
	v_mul_f64 v[243:244], v[155:156], s[22:23]
	v_fma_f64 v[245:246], v[191:192], s[18:19], -v[239:240]
	s_mov_b32 s57, 0x3fe0d888
	s_mov_b32 s56, s22
	;; [unrolled: 1-line block ×3, first 2 shown]
	v_add_f64 v[122:123], v[130:131], v[122:123]
	v_mul_f64 v[130:131], v[2:3], s[42:43]
	v_fma_f64 v[134:135], v[163:164], s[14:15], v[126:127]
	v_add_f64 v[118:119], v[124:125], v[118:119]
	v_fma_f64 v[124:125], v[191:192], s[10:11], v[142:143]
	v_fma_f64 v[126:127], v[163:164], s[14:15], -v[126:127]
	s_mov_b32 s48, s42
	v_add_f64 v[70:71], v[66:67], v[70:71]
	v_add_f64 v[122:123], v[132:133], v[122:123]
	v_fma_f64 v[136:137], v[161:162], s[34:35], v[130:131]
	v_mul_f64 v[132:133], v[13:14], s[26:27]
	v_add_f64 v[118:119], v[128:129], v[118:119]
	v_fma_f64 v[128:129], v[205:206], s[20:21], v[146:147]
	v_fma_f64 v[130:131], v[161:162], s[34:35], -v[130:131]
	v_add_f64 v[68:69], v[64:65], v[68:69]
	v_add_f64 v[70:71], v[70:71], v[74:75]
	;; [unrolled: 1-line block ×3, first 2 shown]
	v_mul_f64 v[134:135], v[21:22], s[16:17]
	v_fma_f64 v[138:139], v[159:160], s[28:29], v[132:133]
	v_add_f64 v[118:119], v[126:127], v[118:119]
	v_fma_f64 v[132:133], v[159:160], s[28:29], -v[132:133]
	v_add_f64 v[68:69], v[68:69], v[72:73]
	v_add_f64 v[70:71], v[70:71], v[82:83]
	;; [unrolled: 1-line block ×3, first 2 shown]
	v_mul_f64 v[136:137], v[19:20], s[38:39]
	v_fma_f64 v[140:141], v[183:184], s[8:9], -v[134:135]
	v_fma_f64 v[134:135], v[183:184], s[8:9], v[134:135]
	v_add_f64 v[118:119], v[130:131], v[118:119]
	v_add_f64 v[68:69], v[68:69], v[80:81]
	;; [unrolled: 1-line block ×4, first 2 shown]
	v_fma_f64 v[144:145], v[181:182], s[18:19], -v[136:137]
	v_add_f64 v[140:141], v[64:65], v[140:141]
	v_fma_f64 v[120:121], v[181:182], s[18:19], v[136:137]
	v_add_f64 v[134:135], v[64:65], v[134:135]
	v_mul_f64 v[136:137], v[211:212], s[24:25]
	v_fma_f64 v[138:139], v[153:154], s[30:31], -v[116:117]
	v_add_f64 v[132:133], v[132:133], v[118:119]
	v_mov_b32_e32 v119, v16
	v_mov_b32_e32 v118, v15
	v_add_f64 v[140:141], v[144:145], v[140:141]
	v_fma_f64 v[144:145], v[205:206], s[20:21], -v[146:147]
	v_add_f64 v[120:121], v[120:121], v[134:135]
	v_mul_f64 v[134:135], v[179:180], s[42:43]
	v_fma_f64 v[142:143], v[203:204], s[14:15], -v[136:137]
	v_fma_f64 v[126:127], v[203:204], s[14:15], v[136:137]
	v_mul_f64 v[146:147], v[0:1], s[54:55]
	v_add_f64 v[68:69], v[68:69], v[92:93]
	v_add_f64 v[140:141], v[148:149], v[140:141]
	v_mul_f64 v[148:149], v[28:29], s[22:23]
	v_add_f64 v[120:121], v[124:125], v[120:121]
	v_mul_f64 v[124:125], v[157:158], s[26:27]
	v_fma_f64 v[130:131], v[201:202], s[34:35], v[134:135]
	v_mul_f64 v[94:95], v[179:180], s[24:25]
	v_fma_f64 v[227:228], v[165:166], s[14:15], v[146:147]
	v_fma_f64 v[146:147], v[165:166], s[14:15], -v[146:147]
	v_add_f64 v[140:141], v[144:145], v[140:141]
	v_fma_f64 v[144:145], v[201:202], s[34:35], -v[134:135]
	v_add_f64 v[120:121], v[128:129], v[120:121]
	v_mul_f64 v[128:129], v[189:190], s[50:51]
	v_fma_f64 v[136:137], v[199:200], s[28:29], -v[124:125]
	v_fma_f64 v[225:226], v[183:184], s[10:11], -v[148:149]
	v_fma_f64 v[148:149], v[183:184], s[10:11], v[148:149]
	v_fma_f64 v[124:125], v[199:200], s[28:29], v[124:125]
	v_add_f64 v[140:141], v[142:143], v[140:141]
	v_mul_f64 v[142:143], v[213:214], s[42:43]
	v_add_f64 v[120:121], v[126:127], v[120:121]
	v_fma_f64 v[126:127], v[153:154], s[30:31], v[116:117]
	v_fma_f64 v[134:135], v[197:198], s[30:31], -v[128:129]
	v_add_f64 v[225:226], v[64:65], v[225:226]
	v_add_f64 v[148:149], v[64:65], v[148:149]
	v_fma_f64 v[128:129], v[197:198], s[30:31], v[128:129]
	v_add_f64 v[140:141], v[144:145], v[140:141]
	v_fma_f64 v[219:220], v[167:168], s[34:35], v[142:143]
	v_fma_f64 v[142:143], v[167:168], s[34:35], -v[142:143]
	v_add_f64 v[21:22], v[126:127], v[122:123]
	v_mul_f64 v[126:127], v[13:14], s[46:47]
	v_add_f64 v[225:226], v[231:232], v[225:226]
	v_add_f64 v[148:149], v[223:224], v[148:149]
	;; [unrolled: 1-line block ×4, first 2 shown]
	v_mul_f64 v[140:141], v[2:3], s[16:17]
	v_mul_f64 v[130:131], v[15:16], s[26:27]
	v_mov_b32_e32 v123, v18
	v_mov_b32_e32 v122, v17
	;; [unrolled: 1-line block ×4, first 2 shown]
	v_add_f64 v[120:121], v[124:125], v[120:121]
	v_add_f64 v[19:20], v[134:135], v[136:137]
	v_fma_f64 v[136:137], v[161:162], s[8:9], v[140:141]
	v_fma_f64 v[140:141], v[161:162], s[8:9], -v[140:141]
	v_fma_f64 v[134:135], v[159:160], s[20:21], v[126:127]
	v_fma_f64 v[124:125], v[153:154], s[28:29], v[130:131]
	v_fma_f64 v[130:131], v[153:154], s[28:29], -v[130:131]
	buffer_store_dword v19, off, s[60:63], 0 offset:96 ; 4-byte Folded Spill
	s_nop 0
	buffer_store_dword v20, off, s[60:63], 0 offset:100 ; 4-byte Folded Spill
	buffer_store_dword v21, off, s[60:63], 0 offset:104 ; 4-byte Folded Spill
	;; [unrolled: 1-line block ×3, first 2 shown]
	v_add_f64 v[21:22], v[138:139], v[132:133]
	v_mul_f64 v[132:133], v[215:216], s[22:23]
	v_mul_f64 v[138:139], v[17:18], s[36:37]
	v_add_f64 v[19:20], v[128:129], v[120:121]
	v_mov_b32_e32 v121, v3
	v_mov_b32_e32 v120, v2
	buffer_store_dword v19, off, s[60:63], 0 offset:112 ; 4-byte Folded Spill
	s_nop 0
	buffer_store_dword v20, off, s[60:63], 0 offset:116 ; 4-byte Folded Spill
	buffer_store_dword v21, off, s[60:63], 0 offset:120 ; 4-byte Folded Spill
	buffer_store_dword v22, off, s[60:63], 0 offset:124 ; 4-byte Folded Spill
	v_fma_f64 v[144:145], v[171:172], s[10:11], v[132:133]
	v_fma_f64 v[132:133], v[171:172], s[10:11], -v[132:133]
	v_fma_f64 v[221:222], v[163:164], s[18:19], v[138:139]
	v_fma_f64 v[138:139], v[163:164], s[18:19], -v[138:139]
	v_add_f64 v[144:145], v[66:67], v[144:145]
	v_add_f64 v[132:133], v[66:67], v[132:133]
	;; [unrolled: 1-line block ×3, first 2 shown]
	v_mul_f64 v[219:220], v[173:174], s[40:41]
	v_add_f64 v[132:133], v[142:143], v[132:133]
	v_add_f64 v[144:145], v[229:230], v[144:145]
	v_mul_f64 v[229:230], v[155:156], s[54:55]
	v_fma_f64 v[233:234], v[191:192], s[30:31], -v[219:220]
	v_fma_f64 v[142:143], v[191:192], s[30:31], v[219:220]
	v_mul_f64 v[219:220], v[211:212], s[36:37]
	v_add_f64 v[132:133], v[150:151], v[132:133]
	v_add_f64 v[144:145], v[227:228], v[144:145]
	v_fma_f64 v[223:224], v[205:206], s[14:15], -v[229:230]
	v_add_f64 v[225:226], v[233:234], v[225:226]
	v_fma_f64 v[150:151], v[205:206], s[14:15], v[229:230]
	v_add_f64 v[142:143], v[142:143], v[148:149]
	v_mul_f64 v[148:149], v[179:180], s[16:17]
	v_add_f64 v[132:133], v[146:147], v[132:133]
	v_fma_f64 v[146:147], v[203:204], s[18:19], v[219:220]
	v_add_f64 v[144:145], v[221:222], v[144:145]
	v_fma_f64 v[221:222], v[203:204], s[18:19], -v[219:220]
	v_add_f64 v[223:224], v[223:224], v[225:226]
	v_mul_f64 v[225:226], v[175:176], s[36:37]
	v_add_f64 v[142:143], v[150:151], v[142:143]
	v_fma_f64 v[150:151], v[201:202], s[8:9], -v[148:149]
	v_add_f64 v[132:133], v[138:139], v[132:133]
	v_fma_f64 v[138:139], v[201:202], s[8:9], v[148:149]
	v_add_f64 v[136:137], v[136:137], v[144:145]
	v_mul_f64 v[144:145], v[157:158], s[46:47]
	v_add_f64 v[219:220], v[221:222], v[223:224]
	v_mul_f64 v[229:230], v[30:31], s[52:53]
	v_add_f64 v[142:143], v[146:147], v[142:143]
	v_fma_f64 v[237:238], v[169:170], s[18:19], v[225:226]
	v_add_f64 v[132:133], v[140:141], v[132:133]
	v_fma_f64 v[225:226], v[169:170], s[18:19], -v[225:226]
	v_add_f64 v[134:135], v[134:135], v[136:137]
	v_fma_f64 v[146:147], v[199:200], s[20:21], -v[144:145]
	;; [unrolled: 2-line block ×3, first 2 shown]
	v_add_f64 v[138:139], v[138:139], v[142:143]
	v_mul_f64 v[142:143], v[215:216], s[24:25]
	v_fma_f64 v[241:242], v[181:182], s[28:29], -v[229:230]
	v_fma_f64 v[229:230], v[181:182], s[28:29], v[229:230]
	v_fma_f64 v[140:141], v[199:200], s[20:21], v[144:145]
	v_mul_f64 v[144:145], v[2:3], s[44:45]
	v_add_f64 v[128:129], v[146:147], v[148:149]
	v_add_f64 v[132:133], v[150:151], v[132:133]
	v_mul_f64 v[150:151], v[213:214], s[52:53]
	v_fma_f64 v[221:222], v[171:172], s[14:15], v[142:143]
	v_mul_f64 v[148:149], v[28:29], s[24:25]
	v_fma_f64 v[142:143], v[171:172], s[14:15], -v[142:143]
	v_mul_f64 v[146:147], v[17:18], s[50:51]
	v_add_f64 v[138:139], v[140:141], v[138:139]
	v_mul_f64 v[140:141], v[13:14], s[16:17]
	v_fma_f64 v[223:224], v[161:162], s[20:21], v[144:145]
	v_fma_f64 v[233:234], v[167:168], s[28:29], v[150:151]
	v_add_f64 v[221:222], v[66:67], v[221:222]
	v_fma_f64 v[231:232], v[183:184], s[14:15], -v[148:149]
	v_fma_f64 v[150:151], v[167:168], s[28:29], -v[150:151]
	v_add_f64 v[142:143], v[66:67], v[142:143]
	v_fma_f64 v[148:149], v[183:184], s[14:15], v[148:149]
	v_fma_f64 v[227:228], v[163:164], s[30:31], v[146:147]
	v_fma_f64 v[146:147], v[163:164], s[30:31], -v[146:147]
	v_mul_f64 v[136:137], v[189:190], s[26:27]
	v_add_f64 v[221:222], v[233:234], v[221:222]
	v_add_f64 v[231:232], v[64:65], v[231:232]
	v_fma_f64 v[233:234], v[165:166], s[10:11], v[235:236]
	v_add_f64 v[142:143], v[150:151], v[142:143]
	v_add_f64 v[148:149], v[64:65], v[148:149]
	v_fma_f64 v[235:236], v[165:166], s[10:11], -v[235:236]
	v_fma_f64 v[219:220], v[159:160], s[8:9], v[140:141]
	v_fma_f64 v[144:145], v[161:162], s[20:21], -v[144:145]
	v_add_f64 v[150:151], v[237:238], v[221:222]
	v_add_f64 v[231:232], v[241:242], v[231:232]
	v_mul_f64 v[221:222], v[211:212], s[50:51]
	v_add_f64 v[142:143], v[225:226], v[142:143]
	v_add_f64 v[148:149], v[229:230], v[148:149]
	v_fma_f64 v[237:238], v[205:206], s[10:11], -v[243:244]
	v_mul_f64 v[225:226], v[179:180], s[44:45]
	v_add_f64 v[21:22], v[124:125], v[134:135]
	v_add_f64 v[150:151], v[233:234], v[150:151]
	v_fma_f64 v[233:234], v[191:192], s[18:19], v[239:240]
	v_add_f64 v[231:232], v[245:246], v[231:232]
	v_add_f64 v[142:143], v[235:236], v[142:143]
	v_fma_f64 v[235:236], v[205:206], s[10:11], v[243:244]
	v_fma_f64 v[229:230], v[203:204], s[30:31], -v[221:222]
	v_fma_f64 v[221:222], v[203:204], s[30:31], v[221:222]
	v_fma_f64 v[124:125], v[197:198], s[28:29], -v[136:137]
	v_add_f64 v[150:151], v[227:228], v[150:151]
	v_add_f64 v[148:149], v[233:234], v[148:149]
	v_add_f64 v[231:232], v[237:238], v[231:232]
	v_add_f64 v[142:143], v[146:147], v[142:143]
	v_mul_f64 v[134:135], v[15:16], s[42:43]
	v_mul_f64 v[227:228], v[157:158], s[16:17]
	v_fma_f64 v[233:234], v[201:202], s[20:21], -v[225:226]
	v_fma_f64 v[140:141], v[159:160], s[8:9], -v[140:141]
	v_add_f64 v[146:147], v[223:224], v[150:151]
	v_add_f64 v[148:149], v[235:236], v[148:149]
	;; [unrolled: 1-line block ×5, first 2 shown]
	v_mul_f64 v[150:151], v[189:190], s[42:43]
	v_fma_f64 v[223:224], v[199:200], s[8:9], -v[227:228]
	v_fma_f64 v[144:145], v[153:154], s[34:35], v[134:135]
	v_add_f64 v[146:147], v[219:220], v[146:147]
	v_fma_f64 v[219:220], v[201:202], s[20:21], v[225:226]
	v_add_f64 v[148:149], v[221:222], v[148:149]
	v_add_f64 v[229:230], v[233:234], v[229:230]
	;; [unrolled: 1-line block ×3, first 2 shown]
	v_fma_f64 v[142:143], v[199:200], s[8:9], v[227:228]
	v_mov_b32_e32 v129, v29
	buffer_store_dword v19, off, s[60:63], 0 offset:128 ; 4-byte Folded Spill
	s_nop 0
	buffer_store_dword v20, off, s[60:63], 0 offset:132 ; 4-byte Folded Spill
	buffer_store_dword v21, off, s[60:63], 0 offset:136 ; 4-byte Folded Spill
	buffer_store_dword v22, off, s[60:63], 0 offset:140 ; 4-byte Folded Spill
	v_mov_b32_e32 v128, v28
	v_fma_f64 v[136:137], v[197:198], s[28:29], v[136:137]
	v_add_f64 v[148:149], v[219:220], v[148:149]
	v_fma_f64 v[221:222], v[197:198], s[34:35], -v[150:151]
	v_add_f64 v[223:224], v[223:224], v[229:230]
	v_fma_f64 v[225:226], v[153:154], s[34:35], -v[134:135]
	v_add_f64 v[21:22], v[144:145], v[146:147]
	v_mul_f64 v[144:145], v[215:216], s[26:27]
	v_mov_b32_e32 v127, v31
	v_mov_b32_e32 v126, v30
	v_add_f64 v[142:143], v[142:143], v[148:149]
	v_mul_f64 v[148:149], v[128:129], s[26:27]
	v_add_f64 v[134:135], v[130:131], v[132:133]
	v_add_f64 v[132:133], v[136:137], v[138:139]
	;; [unrolled: 1-line block ×4, first 2 shown]
	v_fma_f64 v[136:137], v[197:198], s[34:35], v[150:151]
	v_mul_f64 v[150:151], v[213:214], s[56:57]
	v_fma_f64 v[221:222], v[171:172], s[28:29], v[144:145]
	v_mul_f64 v[223:224], v[126:127], s[56:57]
	v_fma_f64 v[225:226], v[183:184], s[28:29], -v[148:149]
	v_mul_f64 v[227:228], v[175:176], s[46:47]
	v_fma_f64 v[144:145], v[171:172], s[28:29], -v[144:145]
	v_mul_f64 v[231:232], v[173:174], s[46:47]
	v_mov_b32_e32 v125, v1
	v_fma_f64 v[229:230], v[167:168], s[10:11], v[150:151]
	v_add_f64 v[221:222], v[66:67], v[221:222]
	v_fma_f64 v[233:234], v[181:182], s[10:11], -v[223:224]
	v_add_f64 v[225:226], v[64:65], v[225:226]
	v_mov_b32_e32 v124, v0
	v_mul_f64 v[235:236], v[124:125], s[48:49]
	v_fma_f64 v[237:238], v[169:170], s[20:21], v[227:228]
	v_fma_f64 v[150:151], v[167:168], s[10:11], -v[150:151]
	v_add_f64 v[144:145], v[66:67], v[144:145]
	v_add_f64 v[221:222], v[229:230], v[221:222]
	v_mul_f64 v[229:230], v[155:156], s[48:49]
	v_fma_f64 v[239:240], v[191:192], s[20:21], -v[231:232]
	v_add_f64 v[225:226], v[233:234], v[225:226]
	v_mul_f64 v[233:234], v[17:18], s[16:17]
	v_fma_f64 v[241:242], v[165:166], s[34:35], v[235:236]
	v_fma_f64 v[227:228], v[169:170], s[20:21], -v[227:228]
	v_add_f64 v[144:145], v[150:151], v[144:145]
	v_add_f64 v[150:151], v[237:238], v[221:222]
	v_mul_f64 v[221:222], v[211:212], s[16:17]
	v_fma_f64 v[237:238], v[205:206], s[34:35], -v[229:230]
	v_add_f64 v[225:226], v[239:240], v[225:226]
	;; [unrolled: 8-line block ×3, first 2 shown]
	v_mul_f64 v[140:141], v[13:14], s[36:37]
	v_fma_f64 v[237:238], v[161:162], s[30:31], v[239:240]
	v_fma_f64 v[233:234], v[163:164], s[8:9], -v[233:234]
	v_fma_f64 v[148:149], v[183:184], s[28:29], v[148:149]
	v_add_f64 v[144:145], v[235:236], v[144:145]
	v_add_f64 v[150:151], v[243:244], v[150:151]
	v_mul_f64 v[235:236], v[157:158], s[36:37]
	v_fma_f64 v[243:244], v[201:202], s[30:31], -v[227:228]
	v_add_f64 v[225:226], v[241:242], v[225:226]
	v_mul_f64 v[146:147], v[15:16], s[24:25]
	v_fma_f64 v[219:220], v[159:160], s[18:19], v[140:141]
	v_fma_f64 v[239:240], v[161:162], s[30:31], -v[239:240]
	v_fma_f64 v[223:224], v[181:182], s[10:11], v[223:224]
	v_add_f64 v[148:149], v[64:65], v[148:149]
	v_add_f64 v[144:145], v[233:234], v[144:145]
	;; [unrolled: 1-line block ×3, first 2 shown]
	v_mul_f64 v[233:234], v[189:190], s[24:25]
	v_fma_f64 v[237:238], v[199:200], s[18:19], -v[235:236]
	v_add_f64 v[225:226], v[243:244], v[225:226]
	v_fma_f64 v[140:141], v[159:160], s[18:19], -v[140:141]
	v_fma_f64 v[231:232], v[191:192], s[20:21], v[231:232]
	v_add_f64 v[148:149], v[223:224], v[148:149]
	v_add_f64 v[144:145], v[239:240], v[144:145]
	v_fma_f64 v[223:224], v[153:154], s[14:15], v[146:147]
	v_add_f64 v[150:151], v[219:220], v[150:151]
	v_fma_f64 v[219:220], v[197:198], s[14:15], -v[233:234]
	v_add_f64 v[225:226], v[237:238], v[225:226]
	v_fma_f64 v[229:230], v[205:206], s[34:35], v[229:230]
	v_add_f64 v[136:137], v[136:137], v[142:143]
	v_add_f64 v[148:149], v[231:232], v[148:149]
	;; [unrolled: 1-line block ×3, first 2 shown]
	v_fma_f64 v[146:147], v[153:154], s[14:15], -v[146:147]
	v_add_f64 v[142:143], v[223:224], v[150:151]
	v_mul_f64 v[150:151], v[215:216], s[40:41]
	v_add_f64 v[140:141], v[219:220], v[225:226]
	v_fma_f64 v[219:220], v[203:204], s[8:9], v[221:222]
	v_mul_f64 v[221:222], v[128:129], s[40:41]
	v_add_f64 v[148:149], v[229:230], v[148:149]
	v_mul_f64 v[223:224], v[213:214], s[16:17]
	v_mul_f64 v[229:230], v[126:127], s[16:17]
	v_add_f64 v[146:147], v[146:147], v[144:145]
	v_fma_f64 v[225:226], v[171:172], s[30:31], v[150:151]
	v_fma_f64 v[144:145], v[197:198], s[14:15], v[233:234]
	;; [unrolled: 1-line block ×3, first 2 shown]
	v_fma_f64 v[231:232], v[183:184], s[30:31], -v[221:222]
	v_add_f64 v[148:149], v[219:220], v[148:149]
	v_fma_f64 v[219:220], v[199:200], s[18:19], v[235:236]
	v_mul_f64 v[233:234], v[175:176], s[52:53]
	v_fma_f64 v[235:236], v[167:168], s[8:9], v[223:224]
	v_add_f64 v[225:226], v[66:67], v[225:226]
	v_mul_f64 v[237:238], v[173:174], s[52:53]
	v_fma_f64 v[239:240], v[181:182], s[8:9], -v[229:230]
	v_add_f64 v[231:232], v[64:65], v[231:232]
	v_add_f64 v[148:149], v[227:228], v[148:149]
	v_fma_f64 v[150:151], v[171:172], s[30:31], -v[150:151]
	v_mul_f64 v[227:228], v[124:125], s[38:39]
	v_fma_f64 v[241:242], v[169:170], s[28:29], v[233:234]
	v_add_f64 v[225:226], v[235:236], v[225:226]
	v_mul_f64 v[235:236], v[155:156], s[38:39]
	v_fma_f64 v[243:244], v[191:192], s[28:29], -v[237:238]
	v_add_f64 v[231:232], v[239:240], v[231:232]
	v_fma_f64 v[223:224], v[167:168], s[8:9], -v[223:224]
	v_add_f64 v[150:151], v[66:67], v[150:151]
	v_mul_f64 v[239:240], v[17:18], s[48:49]
	v_fma_f64 v[245:246], v[165:166], s[18:19], v[227:228]
	v_add_f64 v[225:226], v[241:242], v[225:226]
	v_mul_f64 v[241:242], v[211:212], s[48:49]
	v_fma_f64 v[247:248], v[205:206], s[18:19], -v[235:236]
	v_add_f64 v[231:232], v[243:244], v[231:232]
	v_fma_f64 v[233:234], v[169:170], s[28:29], -v[233:234]
	v_add_f64 v[150:151], v[223:224], v[150:151]
	;; [unrolled: 8-line block ×4, first 2 shown]
	v_mul_f64 v[227:228], v[15:16], s[46:47]
	v_fma_f64 v[249:250], v[159:160], s[14:15], v[233:234]
	v_add_f64 v[225:226], v[247:248], v[225:226]
	v_mul_f64 v[247:248], v[189:190], s[46:47]
	v_fma_f64 v[253:254], v[199:200], s[14:15], -v[243:244]
	v_add_f64 v[231:232], v[251:252], v[231:232]
	v_fma_f64 v[221:222], v[183:184], s[30:31], v[221:222]
	v_fma_f64 v[223:224], v[161:162], s[10:11], -v[223:224]
	v_add_f64 v[150:151], v[239:240], v[150:151]
	v_add_f64 v[148:149], v[219:220], v[148:149]
	v_fma_f64 v[219:220], v[153:154], s[20:21], v[227:228]
	v_add_f64 v[225:226], v[249:250], v[225:226]
	v_fma_f64 v[239:240], v[197:198], s[20:21], -v[247:248]
	v_add_f64 v[231:232], v[253:254], v[231:232]
	v_fma_f64 v[229:230], v[181:182], s[8:9], v[229:230]
	v_mul_f64 v[249:250], v[215:216], s[48:49]
	v_add_f64 v[221:222], v[64:65], v[221:222]
	v_fma_f64 v[233:234], v[159:160], s[14:15], -v[233:234]
	v_add_f64 v[223:224], v[223:224], v[150:151]
	v_add_f64 v[144:145], v[144:145], v[148:149]
	;; [unrolled: 1-line block ×4, first 2 shown]
	v_fma_f64 v[219:220], v[153:154], s[20:21], -v[227:228]
	v_fma_f64 v[225:226], v[191:192], s[28:29], v[237:238]
	v_mul_f64 v[227:228], v[213:214], s[24:25]
	v_fma_f64 v[231:232], v[171:172], s[34:35], v[249:250]
	v_add_f64 v[221:222], v[229:230], v[221:222]
	s_mov_b32 s51, 0x3fc7851a
	s_mov_b32 s50, s16
	v_add_f64 v[223:224], v[233:234], v[223:224]
	v_fma_f64 v[229:230], v[205:206], s[18:19], v[235:236]
	v_mul_f64 v[233:234], v[128:129], s[48:49]
	v_mul_f64 v[235:236], v[175:176], s[50:51]
	v_fma_f64 v[237:238], v[167:168], s[14:15], v[227:228]
	v_add_f64 v[231:232], v[66:67], v[231:232]
	v_add_f64 v[221:222], v[225:226], v[221:222]
	v_fma_f64 v[225:226], v[197:198], s[20:21], v[247:248]
	v_fma_f64 v[239:240], v[203:204], s[34:35], v[241:242]
	v_mul_f64 v[241:242], v[126:127], s[24:25]
	v_fma_f64 v[247:248], v[183:184], s[34:35], -v[233:234]
	v_mul_f64 v[251:252], v[124:125], s[52:53]
	v_fma_f64 v[253:254], v[169:170], s[8:9], v[235:236]
	v_add_f64 v[231:232], v[237:238], v[231:232]
	v_add_f64 v[221:222], v[229:230], v[221:222]
	v_fma_f64 v[229:230], v[201:202], s[10:11], v[245:246]
	v_mul_f64 v[237:238], v[173:174], s[50:51]
	v_fma_f64 v[245:246], v[181:182], s[14:15], -v[241:242]
	v_add_f64 v[247:248], v[64:65], v[247:248]
	v_mul_f64 v[0:1], v[122:123], s[46:47]
	v_fma_f64 v[2:3], v[165:166], s[28:29], v[251:252]
	v_add_f64 v[231:232], v[253:254], v[231:232]
	v_add_f64 v[221:222], v[239:240], v[221:222]
	buffer_store_dword v19, off, s[60:63], 0 offset:144 ; 4-byte Folded Spill
	s_nop 0
	buffer_store_dword v20, off, s[60:63], 0 offset:148 ; 4-byte Folded Spill
	buffer_store_dword v21, off, s[60:63], 0 offset:152 ; 4-byte Folded Spill
	;; [unrolled: 1-line block ×3, first 2 shown]
	v_mov_b32_e32 v23, v8
	v_fma_f64 v[239:240], v[199:200], s[14:15], v[243:244]
	v_mul_f64 v[243:244], v[155:156], s[52:53]
	v_fma_f64 v[253:254], v[191:192], s[8:9], -v[237:238]
	v_add_f64 v[245:246], v[245:246], v[247:248]
	v_mul_f64 v[247:248], v[120:121], s[36:37]
	v_mov_b32_e32 v22, v7
	v_mov_b32_e32 v21, v6
	;; [unrolled: 1-line block ×3, first 2 shown]
	v_fma_f64 v[4:5], v[163:164], s[20:21], v[0:1]
	v_add_f64 v[2:3], v[2:3], v[231:232]
	v_add_f64 v[6:7], v[229:230], v[221:222]
	v_fma_f64 v[221:222], v[171:172], s[34:35], -v[249:250]
	v_mul_f64 v[229:230], v[211:212], s[46:47]
	v_fma_f64 v[231:232], v[205:206], s[28:29], -v[243:244]
	v_add_f64 v[245:246], v[253:254], v[245:246]
	v_mul_f64 v[249:250], v[116:117], s[40:41]
	v_fma_f64 v[253:254], v[161:162], s[18:19], v[247:248]
	v_add_f64 v[2:3], v[4:5], v[2:3]
	v_fma_f64 v[227:228], v[167:168], s[14:15], -v[227:228]
	v_add_f64 v[221:222], v[66:67], v[221:222]
	v_mov_b32_e32 v31, v27
	v_mov_b32_e32 v30, v26
	;; [unrolled: 1-line block ×8, first 2 shown]
	v_fma_f64 v[8:9], v[203:204], s[20:21], -v[229:230]
	v_add_f64 v[10:11], v[231:232], v[245:246]
	v_mul_f64 v[231:232], v[118:119], s[22:23]
	v_fma_f64 v[245:246], v[159:160], s[30:31], v[249:250]
	v_add_f64 v[2:3], v[253:254], v[2:3]
	v_fma_f64 v[235:236], v[169:170], s[8:9], -v[235:236]
	v_add_f64 v[221:222], v[227:228], v[221:222]
	v_mul_f64 v[4:5], v[179:180], s[36:37]
	v_add_f64 v[6:7], v[239:240], v[6:7]
	v_add_f64 v[8:9], v[8:9], v[10:11]
	v_fma_f64 v[10:11], v[153:154], s[10:11], v[231:232]
	v_mul_f64 v[253:254], v[157:158], s[40:41]
	v_add_f64 v[2:3], v[245:246], v[2:3]
	v_fma_f64 v[245:246], v[165:166], s[28:29], -v[251:252]
	v_add_f64 v[235:236], v[235:236], v[221:222]
	v_fma_f64 v[227:228], v[201:202], s[18:19], -v[4:5]
	v_add_f64 v[221:222], v[219:220], v[223:224]
	v_add_f64 v[219:220], v[225:226], v[6:7]
	v_fma_f64 v[0:1], v[163:164], s[20:21], -v[0:1]
	v_fma_f64 v[251:252], v[199:200], s[30:31], -v[253:254]
	v_add_f64 v[225:226], v[10:11], v[2:3]
	v_mul_f64 v[2:3], v[215:216], s[44:45]
	v_add_f64 v[6:7], v[245:246], v[235:236]
	v_add_f64 v[8:9], v[227:228], v[8:9]
	v_fma_f64 v[227:228], v[153:154], s[10:11], -v[231:232]
	v_fma_f64 v[223:224], v[183:184], s[34:35], v[233:234]
	v_fma_f64 v[231:232], v[161:162], s[18:19], -v[247:248]
	v_mul_f64 v[235:236], v[213:214], s[40:41]
	v_mul_f64 v[245:246], v[128:129], s[44:45]
	v_fma_f64 v[233:234], v[171:172], s[20:21], v[2:3]
	v_add_f64 v[0:1], v[0:1], v[6:7]
	v_add_f64 v[8:9], v[251:252], v[8:9]
	v_fma_f64 v[6:7], v[159:160], s[30:31], -v[249:250]
	v_fma_f64 v[241:242], v[181:182], s[14:15], v[241:242]
	v_add_f64 v[223:224], v[64:65], v[223:224]
	v_mul_f64 v[247:248], v[175:176], s[24:25]
	v_fma_f64 v[249:250], v[167:168], s[30:31], v[235:236]
	v_add_f64 v[233:234], v[66:67], v[233:234]
	v_add_f64 v[0:1], v[231:232], v[0:1]
	v_fma_f64 v[231:232], v[191:192], s[8:9], v[237:238]
	v_mul_f64 v[237:238], v[126:127], s[40:41]
	v_fma_f64 v[251:252], v[183:184], s[20:21], -v[245:246]
	v_add_f64 v[223:224], v[241:242], v[223:224]
	v_mul_f64 v[241:242], v[124:125], s[16:17]
	v_fma_f64 v[12:13], v[169:170], s[14:15], v[247:248]
	v_add_f64 v[14:15], v[249:250], v[233:234]
	v_fma_f64 v[233:234], v[205:206], s[28:29], v[243:244]
	v_mul_f64 v[243:244], v[173:174], s[24:25]
	v_fma_f64 v[249:250], v[181:182], s[30:31], -v[237:238]
	v_add_f64 v[251:252], v[64:65], v[251:252]
	v_add_f64 v[223:224], v[231:232], v[223:224]
	v_mul_f64 v[231:232], v[122:123], s[56:57]
	v_fma_f64 v[16:17], v[165:166], s[8:9], v[241:242]
	v_add_f64 v[12:13], v[12:13], v[14:15]
	v_fma_f64 v[14:15], v[203:204], s[20:21], v[229:230]
	v_mul_f64 v[18:19], v[155:156], s[16:17]
	v_fma_f64 v[229:230], v[191:192], s[14:15], -v[243:244]
	v_add_f64 v[249:250], v[249:250], v[251:252]
	v_add_f64 v[223:224], v[233:234], v[223:224]
	v_mul_f64 v[251:252], v[120:121], s[52:53]
	v_fma_f64 v[233:234], v[163:164], s[10:11], v[231:232]
	v_add_f64 v[12:13], v[16:17], v[12:13]
	v_mul_f64 v[16:17], v[211:212], s[56:57]
	v_fma_f64 v[177:178], v[205:206], s[8:9], -v[18:19]
	v_fma_f64 v[4:5], v[201:202], s[18:19], v[4:5]
	v_add_f64 v[229:230], v[229:230], v[249:250]
	v_add_f64 v[14:15], v[14:15], v[223:224]
	v_mul_f64 v[249:250], v[116:117], s[42:43]
	v_fma_f64 v[223:224], v[161:162], s[28:29], v[251:252]
	v_add_f64 v[12:13], v[233:234], v[12:13]
	v_fma_f64 v[233:234], v[199:200], s[30:31], v[253:254]
	v_mul_f64 v[253:254], v[179:180], s[52:53]
	v_fma_f64 v[185:186], v[203:204], s[10:11], -v[16:17]
	v_add_f64 v[177:178], v[177:178], v[229:230]
	v_add_f64 v[4:5], v[4:5], v[14:15]
	v_mul_f64 v[14:15], v[118:119], s[38:39]
	v_fma_f64 v[229:230], v[159:160], s[34:35], v[249:250]
	v_add_f64 v[12:13], v[223:224], v[12:13]
	v_add_f64 v[0:1], v[6:7], v[0:1]
	v_mul_f64 v[6:7], v[157:158], s[42:43]
	v_fma_f64 v[223:224], v[201:202], s[28:29], -v[253:254]
	v_add_f64 v[177:178], v[185:186], v[177:178]
	v_fma_f64 v[2:3], v[171:172], s[20:21], -v[2:3]
	v_add_f64 v[4:5], v[233:234], v[4:5]
	v_fma_f64 v[233:234], v[153:154], s[18:19], v[14:15]
	v_add_f64 v[12:13], v[229:230], v[12:13]
	v_add_f64 v[229:230], v[227:228], v[0:1]
	v_fma_f64 v[187:188], v[199:200], s[34:35], -v[6:7]
	v_fma_f64 v[0:1], v[167:168], s[30:31], -v[235:236]
	v_add_f64 v[177:178], v[223:224], v[177:178]
	v_add_f64 v[2:3], v[66:67], v[2:3]
	v_mul_f64 v[239:240], v[189:190], s[22:23]
	v_mul_f64 v[92:93], v[128:129], s[36:37]
	v_add_f64 v[233:234], v[233:234], v[12:13]
	v_mul_f64 v[213:214], v[213:214], s[44:45]
	v_mul_f64 v[175:176], v[175:176], s[48:49]
	v_fma_f64 v[18:19], v[205:206], s[8:9], v[18:19]
	v_add_f64 v[12:13], v[187:188], v[177:178]
	v_fma_f64 v[177:178], v[169:170], s[14:15], -v[247:248]
	v_add_f64 v[0:1], v[0:1], v[2:3]
	v_fma_f64 v[187:188], v[163:164], s[10:11], -v[231:232]
	v_fma_f64 v[231:232], v[165:166], s[8:9], -v[241:242]
	v_fma_f64 v[185:186], v[197:198], s[10:11], v[239:240]
	v_fma_f64 v[2:3], v[161:162], s[28:29], -v[251:252]
	v_fma_f64 v[10:11], v[197:198], s[10:11], -v[239:240]
	v_mul_f64 v[72:73], v[124:125], s[40:41]
	v_fma_f64 v[74:75], v[169:170], s[34:35], v[175:176]
	v_add_f64 v[0:1], v[177:178], v[0:1]
	v_fma_f64 v[177:178], v[191:192], s[14:15], v[243:244]
	v_fma_f64 v[16:17], v[203:204], s[10:11], v[16:17]
	v_add_f64 v[227:228], v[185:186], v[4:5]
	v_fma_f64 v[4:5], v[153:154], s[18:19], -v[14:15]
	v_fma_f64 v[14:15], v[159:160], s[34:35], -v[249:250]
	v_add_f64 v[223:224], v[10:11], v[8:9]
	v_fma_f64 v[8:9], v[183:184], s[20:21], v[245:246]
	v_add_f64 v[0:1], v[231:232], v[0:1]
	v_mul_f64 v[185:186], v[215:216], s[36:37]
	v_fma_f64 v[215:216], v[181:182], s[30:31], v[237:238]
	v_fma_f64 v[80:81], v[165:166], s[30:31], v[72:73]
	v_fma_f64 v[72:73], v[165:166], s[30:31], -v[72:73]
	v_mul_f64 v[239:240], v[189:190], s[38:39]
	v_fma_f64 v[6:7], v[199:200], s[34:35], v[6:7]
	v_add_f64 v[8:9], v[64:65], v[8:9]
	v_add_f64 v[0:1], v[187:188], v[0:1]
	v_fma_f64 v[235:236], v[171:172], s[18:19], v[185:186]
	v_fma_f64 v[10:11], v[197:198], s[18:19], -v[239:240]
	v_add_f64 v[8:9], v[215:216], v[8:9]
	v_add_f64 v[0:1], v[2:3], v[0:1]
	v_fma_f64 v[215:216], v[167:168], s[20:21], v[213:214]
	v_add_f64 v[235:236], v[66:67], v[235:236]
	v_fma_f64 v[2:3], v[201:202], s[28:29], v[253:254]
	v_add_f64 v[231:232], v[10:11], v[12:13]
	v_add_f64 v[8:9], v[177:178], v[8:9]
	;; [unrolled: 1-line block ×6, first 2 shown]
	v_mul_f64 v[102:103], v[155:156], s[40:41]
	v_mul_f64 v[100:101], v[211:212], s[26:27]
	v_add_f64 v[8:9], v[18:19], v[8:9]
	v_add_f64 v[68:69], v[4:5], v[0:1]
	;; [unrolled: 1-line block ×4, first 2 shown]
	v_fma_f64 v[104:105], v[171:172], s[18:19], -v[185:186]
	v_mul_f64 v[106:107], v[126:127], s[44:45]
	v_mul_f64 v[18:19], v[122:123], s[26:27]
	v_add_f64 v[74:75], v[74:75], v[177:178]
	v_add_f64 v[8:9], v[16:17], v[8:9]
	v_mul_f64 v[16:17], v[120:121], s[24:25]
	v_add_f64 v[4:5], v[4:5], v[114:115]
	v_add_f64 v[14:15], v[14:15], v[112:113]
	v_fma_f64 v[112:113], v[167:168], s[20:21], -v[213:214]
	v_add_f64 v[66:67], v[66:67], v[104:105]
	v_fma_f64 v[104:105], v[181:182], s[20:21], v[106:107]
	v_fma_f64 v[82:83], v[163:164], s[28:29], v[18:19]
	v_add_f64 v[74:75], v[80:81], v[74:75]
	v_fma_f64 v[18:19], v[163:164], s[28:29], -v[18:19]
	v_add_f64 v[4:5], v[4:5], v[110:111]
	v_add_f64 v[14:15], v[14:15], v[108:109]
	v_fma_f64 v[108:109], v[183:184], s[18:19], v[92:93]
	v_mul_f64 v[110:111], v[173:174], s[48:49]
	v_fma_f64 v[92:93], v[183:184], s[18:19], -v[92:93]
	v_add_f64 v[66:67], v[112:113], v[66:67]
	v_add_f64 v[2:3], v[2:3], v[8:9]
	v_fma_f64 v[80:81], v[161:162], s[14:15], v[16:17]
	v_add_f64 v[4:5], v[4:5], v[98:99]
	v_add_f64 v[14:15], v[14:15], v[96:97]
	;; [unrolled: 1-line block ×3, first 2 shown]
	v_fma_f64 v[98:99], v[181:182], s[20:21], -v[106:107]
	v_add_f64 v[64:65], v[64:65], v[92:93]
	v_fma_f64 v[92:93], v[169:170], s[34:35], -v[175:176]
	v_fma_f64 v[106:107], v[191:192], s[34:35], v[110:111]
	v_add_f64 v[74:75], v[82:83], v[74:75]
	v_mul_f64 v[82:83], v[157:158], s[22:23]
	v_add_f64 v[14:15], v[14:15], v[88:89]
	v_add_f64 v[88:89], v[104:105], v[96:97]
	v_fma_f64 v[16:17], v[161:162], s[14:15], -v[16:17]
	v_fma_f64 v[0:1], v[197:198], s[18:19], v[239:240]
	v_add_f64 v[66:67], v[92:93], v[66:67]
	v_fma_f64 v[92:93], v[205:206], s[30:31], v[102:103]
	v_add_f64 v[70:71], v[6:7], v[2:3]
	v_add_f64 v[74:75], v[80:81], v[74:75]
	v_add_f64 v[14:15], v[14:15], v[84:85]
	v_add_f64 v[84:85], v[106:107], v[88:89]
	v_mul_f64 v[80:81], v[189:190], s[16:17]
	buffer_load_dword v187, off, s[60:63], 0 offset:72 ; 4-byte Folded Reload
	buffer_load_dword v188, off, s[60:63], 0 offset:76 ; 4-byte Folded Reload
	;; [unrolled: 1-line block ×4, first 2 shown]
	v_add_f64 v[66:67], v[72:73], v[66:67]
	v_fma_f64 v[72:73], v[203:204], s[28:29], v[100:101]
	buffer_load_dword v177, off, s[60:63], 0 offset:40 ; 4-byte Folded Reload
	buffer_load_dword v178, off, s[60:63], 0 offset:44 ; 4-byte Folded Reload
	;; [unrolled: 1-line block ×8, first 2 shown]
	v_add_f64 v[14:15], v[14:15], v[76:77]
	v_add_f64 v[76:77], v[92:93], v[84:85]
	buffer_load_dword v181, off, s[60:63], 0 offset:32 ; 4-byte Folded Reload
	v_add_f64 v[4:5], v[4:5], v[90:91]
	v_add_f64 v[18:19], v[18:19], v[66:67]
	v_fma_f64 v[66:67], v[201:202], s[14:15], v[94:95]
	v_fma_f64 v[90:91], v[191:192], s[34:35], -v[110:111]
	v_add_f64 v[64:65], v[98:99], v[64:65]
	v_mul_f64 v[8:9], v[116:117], s[22:23]
	v_add_f64 v[72:73], v[72:73], v[76:77]
	v_add_f64 v[14:15], v[14:15], v[24:25]
	;; [unrolled: 1-line block ×4, first 2 shown]
	v_fma_f64 v[18:19], v[199:200], s[10:11], v[82:83]
	v_fma_f64 v[86:87], v[205:206], s[30:31], -v[102:103]
	v_add_f64 v[64:65], v[90:91], v[64:65]
	v_mul_f64 v[2:3], v[118:119], s[16:17]
	v_add_f64 v[66:67], v[66:67], v[72:73]
	v_fma_f64 v[6:7], v[159:160], s[10:11], v[8:9]
	v_add_f64 v[4:5], v[4:5], v[78:79]
	v_fma_f64 v[78:79], v[203:204], s[28:29], -v[100:101]
	v_fma_f64 v[76:77], v[201:202], s[14:15], -v[94:95]
	;; [unrolled: 1-line block ×3, first 2 shown]
	v_add_f64 v[64:65], v[86:87], v[64:65]
	v_add_f64 v[14:15], v[14:15], v[20:21]
	v_add_f64 v[18:19], v[18:19], v[66:67]
	v_add_f64 v[66:67], v[0:1], v[70:71]
	buffer_load_dword v1, off, s[60:63], 0 offset:88 ; 4-byte Folded Reload
	v_add_f64 v[4:5], v[4:5], v[26:27]
	v_add_f64 v[74:75], v[6:7], v[74:75]
	;; [unrolled: 1-line block ×5, first 2 shown]
	v_fma_f64 v[16:17], v[197:198], s[8:9], v[80:81]
	v_fma_f64 v[72:73], v[199:200], s[10:11], -v[82:83]
	v_fma_f64 v[82:83], v[153:154], s[8:9], v[2:3]
	v_add_f64 v[4:5], v[4:5], v[22:23]
	v_fma_f64 v[80:81], v[197:198], s[8:9], -v[80:81]
	v_mov_b32_e32 v24, v28
	v_add_f64 v[64:65], v[76:77], v[64:65]
	v_fma_f64 v[76:77], v[153:154], s[8:9], -v[2:3]
	v_add_f64 v[6:7], v[14:15], v[193:194]
	v_add_f64 v[2:3], v[16:17], v[18:19]
	;; [unrolled: 1-line block ×4, first 2 shown]
	v_mov_b32_e32 v25, v29
	v_mov_b32_e32 v26, v30
	v_add_f64 v[64:65], v[72:73], v[64:65]
	v_add_f64 v[4:5], v[76:77], v[8:9]
	v_mov_b32_e32 v27, v31
	v_add_f64 v[8:9], v[78:79], v[195:196]
	v_add_f64 v[10:11], v[80:81], v[64:65]
	s_waitcnt vmcnt(1)
	v_mul_lo_u16_e32 v0, 17, v181
	s_waitcnt vmcnt(0)
	v_lshl_add_u32 v0, v0, 4, v1
	ds_write_b128 v0, v[6:9]
	ds_write_b128 v0, v[2:5] offset:16
	ds_write_b128 v0, v[66:69] offset:32
	;; [unrolled: 1-line block ×7, first 2 shown]
	buffer_load_dword v1, off, s[60:63], 0 offset:112 ; 4-byte Folded Reload
	buffer_load_dword v2, off, s[60:63], 0 offset:116 ; 4-byte Folded Reload
	buffer_load_dword v3, off, s[60:63], 0 offset:120 ; 4-byte Folded Reload
	buffer_load_dword v4, off, s[60:63], 0 offset:124 ; 4-byte Folded Reload
	s_waitcnt vmcnt(0)
	ds_write_b128 v0, v[1:4] offset:128
	buffer_load_dword v1, off, s[60:63], 0 offset:96 ; 4-byte Folded Reload
	buffer_load_dword v2, off, s[60:63], 0 offset:100 ; 4-byte Folded Reload
	buffer_load_dword v3, off, s[60:63], 0 offset:104 ; 4-byte Folded Reload
	buffer_load_dword v4, off, s[60:63], 0 offset:108 ; 4-byte Folded Reload
	s_waitcnt vmcnt(0)
	ds_write_b128 v0, v[1:4] offset:144
	;; [unrolled: 6-line block ×4, first 2 shown]
	ds_write_b128 v0, v[140:143] offset:192
	ds_write_b128 v0, v[148:151] offset:208
	;; [unrolled: 1-line block ×5, first 2 shown]
.LBB0_13:
	s_or_b64 exec, exec, s[4:5]
	s_waitcnt lgkmcnt(0)
	s_barrier
	ds_read_b128 v[0:3], v218 offset:272
	s_mov_b32 s4, 0xe00740e9
	s_mov_b32 s5, 0x3fec55a7
	;; [unrolled: 1-line block ×4, first 2 shown]
	s_waitcnt lgkmcnt(0)
	v_mul_f64 v[12:13], v[62:63], v[2:3]
	v_mul_f64 v[14:15], v[62:63], v[0:1]
	ds_read_b128 v[4:7], v218 offset:544
	ds_read_b128 v[62:65], v218
	ds_read_b128 v[8:11], v218 offset:816
	s_mov_b32 s20, 0x1ea71119
	s_mov_b32 s14, 0xebaa3ed8
	s_waitcnt lgkmcnt(2)
	v_mul_f64 v[16:17], v[58:59], v[6:7]
	v_mul_f64 v[18:19], v[58:59], v[4:5]
	s_waitcnt lgkmcnt(0)
	v_mul_f64 v[66:67], v[189:190], v[10:11]
	v_fma_f64 v[74:75], v[60:61], v[0:1], v[12:13]
	v_fma_f64 v[60:61], v[60:61], v[2:3], -v[14:15]
	ds_read_b128 v[0:3], v218 offset:1088
	ds_read_b128 v[12:15], v218 offset:1360
	v_mul_f64 v[30:31], v[189:190], v[8:9]
	s_mov_b32 s28, 0xb2365da1
	v_fma_f64 v[76:77], v[56:57], v[4:5], v[16:17]
	v_fma_f64 v[78:79], v[56:57], v[6:7], -v[18:19]
	s_waitcnt lgkmcnt(1)
	v_mul_f64 v[70:71], v[26:27], v[2:3]
	v_add_f64 v[16:17], v[62:63], v[74:75]
	v_add_f64 v[18:19], v[64:65], v[60:61]
	v_fma_f64 v[80:81], v[187:188], v[8:9], v[66:67]
	v_mul_f64 v[22:23], v[26:27], v[0:1]
	v_fma_f64 v[82:83], v[187:188], v[10:11], -v[30:31]
	ds_read_b128 v[4:7], v218 offset:1632
	ds_read_b128 v[56:59], v218 offset:1904
	;; [unrolled: 1-line block ×4, first 2 shown]
	s_mov_b32 s34, 0x24c2f84
	v_add_f64 v[8:9], v[16:17], v[76:77]
	v_add_f64 v[10:11], v[18:19], v[78:79]
	s_waitcnt lgkmcnt(4)
	v_mul_f64 v[16:17], v[54:55], v[14:15]
	v_mul_f64 v[18:19], v[54:55], v[12:13]
	v_fma_f64 v[54:55], v[24:25], v[0:1], v[70:71]
	v_fma_f64 v[84:85], v[24:25], v[2:3], -v[22:23]
	s_waitcnt lgkmcnt(3)
	v_mul_f64 v[86:87], v[34:35], v[6:7]
	v_mul_f64 v[34:35], v[34:35], v[4:5]
	v_add_f64 v[8:9], v[8:9], v[80:81]
	v_add_f64 v[10:11], v[10:11], v[82:83]
	v_fma_f64 v[12:13], v[52:53], v[12:13], v[16:17]
	v_fma_f64 v[14:15], v[52:53], v[14:15], -v[18:19]
	s_waitcnt lgkmcnt(2)
	v_mul_f64 v[16:17], v[185:186], v[58:59]
	v_mul_f64 v[18:19], v[185:186], v[56:57]
	v_fma_f64 v[4:5], v[32:33], v[4:5], v[86:87]
	v_fma_f64 v[6:7], v[32:33], v[6:7], -v[34:35]
	v_add_f64 v[8:9], v[8:9], v[54:55]
	v_add_f64 v[10:11], v[10:11], v[84:85]
	s_waitcnt lgkmcnt(1)
	v_mul_f64 v[34:35], v[179:180], v[30:31]
	ds_read_b128 v[0:3], v218 offset:2720
	ds_read_b128 v[20:23], v218 offset:2992
	ds_read_b128 v[70:73], v218 offset:3264
	v_mul_f64 v[52:53], v[179:180], v[28:29]
	s_mov_b32 s36, 0xd0032e0c
	s_mov_b32 s42, 0x93053d00
	;; [unrolled: 1-line block ×3, first 2 shown]
	v_add_f64 v[26:27], v[8:9], v[12:13]
	v_add_f64 v[32:33], v[10:11], v[14:15]
	v_fma_f64 v[8:9], v[183:184], v[56:57], v[16:17]
	v_fma_f64 v[10:11], v[183:184], v[58:59], -v[18:19]
	s_waitcnt lgkmcnt(0)
	v_mul_f64 v[56:57], v[46:47], v[70:71]
	v_fma_f64 v[18:19], v[177:178], v[28:29], v[34:35]
	v_mul_f64 v[58:59], v[42:43], v[2:3]
	v_fma_f64 v[16:17], v[177:178], v[30:31], -v[52:53]
	v_add_f64 v[24:25], v[26:27], v[4:5]
	v_add_f64 v[26:27], v[32:33], v[6:7]
	v_mul_f64 v[32:33], v[50:51], v[68:69]
	v_mul_f64 v[50:51], v[50:51], v[66:67]
	;; [unrolled: 1-line block ×3, first 2 shown]
	v_fma_f64 v[34:35], v[44:45], v[72:73], -v[56:57]
	v_mul_f64 v[30:31], v[42:43], v[0:1]
	v_mul_f64 v[42:43], v[38:39], v[22:23]
	v_add_f64 v[24:25], v[24:25], v[8:9]
	v_add_f64 v[26:27], v[26:27], v[10:11]
	v_fma_f64 v[32:33], v[48:49], v[66:67], v[32:33]
	v_fma_f64 v[46:47], v[48:49], v[68:69], -v[50:51]
	v_fma_f64 v[28:29], v[44:45], v[70:71], v[28:29]
	v_add_f64 v[48:49], v[60:61], v[34:35]
	v_fma_f64 v[50:51], v[40:41], v[0:1], v[58:59]
	v_mul_f64 v[38:39], v[38:39], v[20:21]
	v_add_f64 v[24:25], v[24:25], v[18:19]
	v_add_f64 v[26:27], v[26:27], v[16:17]
	v_fma_f64 v[30:31], v[40:41], v[2:3], -v[30:31]
	v_fma_f64 v[20:21], v[36:37], v[20:21], v[42:43]
	v_add_f64 v[44:45], v[60:61], -v[34:35]
	v_mul_f64 v[52:53], v[48:49], s[4:5]
	s_mov_b32 s15, 0x3fbedb7d
	v_fma_f64 v[22:23], v[36:37], v[22:23], -v[38:39]
	v_add_f64 v[0:1], v[24:25], v[32:33]
	v_add_f64 v[2:3], v[26:27], v[46:47]
	v_add_f64 v[26:27], v[74:75], -v[28:29]
	s_mov_b32 s29, 0xbfd6b1d8
	s_mov_b32 s35, 0xbfe5384d
	;; [unrolled: 1-line block ×4, first 2 shown]
	v_add_f64 v[24:25], v[74:75], v[28:29]
	v_add_f64 v[0:1], v[0:1], v[50:51]
	;; [unrolled: 1-line block ×3, first 2 shown]
	v_fma_f64 v[42:43], v[26:27], s[10:11], v[52:53]
	v_mul_f64 v[40:41], v[44:45], s[10:11]
	v_mul_f64 v[58:59], v[48:49], s[14:15]
	;; [unrolled: 1-line block ×5, first 2 shown]
	v_add_f64 v[0:1], v[0:1], v[20:21]
	v_add_f64 v[2:3], v[2:3], v[22:23]
	;; [unrolled: 1-line block ×3, first 2 shown]
	v_add_f64 v[22:23], v[78:79], -v[22:23]
	s_mov_b32 s18, 0x42a4c3d2
	s_mov_b32 s8, 0x66966769
	;; [unrolled: 1-line block ×4, first 2 shown]
	v_add_f64 v[0:1], v[0:1], v[28:29]
	v_add_f64 v[28:29], v[64:65], v[42:43]
	v_mul_f64 v[42:43], v[48:49], s[20:21]
	v_mul_f64 v[48:49], v[48:49], s[42:43]
	s_mov_b32 s27, 0x3fddbe06
	s_mov_b32 s26, s10
	;; [unrolled: 1-line block ×16, first 2 shown]
	v_fma_f64 v[36:37], v[24:25], s[4:5], v[40:41]
	v_fma_f64 v[38:39], v[26:27], s[26:27], v[52:53]
	v_mul_f64 v[52:53], v[44:45], s[18:19]
	v_mul_f64 v[56:57], v[44:45], s[8:9]
	v_fma_f64 v[60:61], v[26:27], s[22:23], v[42:43]
	v_fma_f64 v[42:43], v[26:27], s[18:19], v[42:43]
	;; [unrolled: 1-line block ×3, first 2 shown]
	v_mul_f64 v[70:71], v[44:45], s[24:25]
	v_fma_f64 v[58:59], v[26:27], s[8:9], v[58:59]
	v_fma_f64 v[90:91], v[26:27], s[30:31], v[74:75]
	;; [unrolled: 1-line block ×5, first 2 shown]
	v_mul_f64 v[44:45], v[44:45], s[40:41]
	v_fma_f64 v[86:87], v[24:25], s[36:37], -v[86:87]
	v_fma_f64 v[88:89], v[26:27], s[34:35], v[88:89]
	v_add_f64 v[98:99], v[76:77], v[20:21]
	v_add_f64 v[20:21], v[76:77], -v[20:21]
	v_mul_f64 v[76:77], v[22:23], s[18:19]
	v_mul_f64 v[100:101], v[96:97], s[20:21]
	v_fma_f64 v[102:103], v[26:27], s[44:45], v[48:49]
	v_fma_f64 v[26:27], v[26:27], s[40:41], v[48:49]
	v_fma_f64 v[40:41], v[24:25], s[4:5], -v[40:41]
	v_add_f64 v[36:37], v[62:63], v[36:37]
	v_add_f64 v[38:39], v[64:65], v[38:39]
	;; [unrolled: 1-line block ×3, first 2 shown]
	v_fma_f64 v[34:35], v[24:25], s[20:21], v[52:53]
	v_fma_f64 v[52:53], v[24:25], s[20:21], -v[52:53]
	v_fma_f64 v[66:67], v[24:25], s[14:15], v[56:57]
	v_add_f64 v[60:61], v[64:65], v[60:61]
	v_add_f64 v[42:43], v[64:65], v[42:43]
	;; [unrolled: 1-line block ×3, first 2 shown]
	v_fma_f64 v[56:57], v[24:25], s[14:15], -v[56:57]
	v_fma_f64 v[72:73], v[24:25], s[28:29], v[70:71]
	v_fma_f64 v[70:71], v[24:25], s[28:29], -v[70:71]
	v_add_f64 v[58:59], v[64:65], v[58:59]
	v_add_f64 v[90:91], v[64:65], v[90:91]
	;; [unrolled: 1-line block ×4, first 2 shown]
	v_fma_f64 v[78:79], v[24:25], s[42:43], v[44:45]
	v_fma_f64 v[24:25], v[24:25], s[42:43], -v[44:45]
	v_add_f64 v[44:45], v[62:63], v[86:87]
	v_add_f64 v[48:49], v[64:65], v[88:89]
	v_fma_f64 v[86:87], v[98:99], s[20:21], v[76:77]
	v_fma_f64 v[88:89], v[20:21], s[22:23], v[100:101]
	v_add_f64 v[102:103], v[64:65], v[102:103]
	v_add_f64 v[26:27], v[64:65], v[26:27]
	v_mul_f64 v[64:65], v[96:97], s[28:29]
	v_add_f64 v[40:41], v[62:63], v[40:41]
	v_add_f64 v[34:35], v[62:63], v[34:35]
	v_add_f64 v[52:53], v[62:63], v[52:53]
	v_add_f64 v[66:67], v[62:63], v[66:67]
	v_add_f64 v[56:57], v[62:63], v[56:57]
	v_add_f64 v[72:73], v[62:63], v[72:73]
	v_add_f64 v[70:71], v[62:63], v[70:71]
	v_add_f64 v[92:93], v[62:63], v[92:93]
	v_add_f64 v[78:79], v[62:63], v[78:79]
	v_add_f64 v[24:25], v[62:63], v[24:25]
	v_mul_f64 v[62:63], v[22:23], s[24:25]
	v_add_f64 v[36:37], v[86:87], v[36:37]
	v_add_f64 v[38:39], v[88:89], v[38:39]
	v_fma_f64 v[76:77], v[98:99], s[20:21], -v[76:77]
	v_fma_f64 v[86:87], v[20:21], s[18:19], v[100:101]
	v_mul_f64 v[88:89], v[22:23], s[40:41]
	v_mul_f64 v[100:101], v[96:97], s[42:43]
	v_fma_f64 v[106:107], v[20:21], s[30:31], v[64:65]
	v_fma_f64 v[64:65], v[20:21], s[24:25], v[64:65]
	;; [unrolled: 1-line block ×3, first 2 shown]
	v_fma_f64 v[62:63], v[98:99], s[28:29], -v[62:63]
	v_add_f64 v[40:41], v[76:77], v[40:41]
	v_add_f64 v[28:29], v[86:87], v[28:29]
	v_fma_f64 v[76:77], v[98:99], s[42:43], v[88:89]
	v_fma_f64 v[86:87], v[20:21], s[44:45], v[100:101]
	v_add_f64 v[60:61], v[106:107], v[60:61]
	v_add_f64 v[42:43], v[64:65], v[42:43]
	v_mul_f64 v[64:65], v[96:97], s[36:37]
	v_add_f64 v[52:53], v[62:63], v[52:53]
	v_mul_f64 v[62:63], v[22:23], s[38:39]
	v_fma_f64 v[88:89], v[98:99], s[42:43], -v[88:89]
	v_add_f64 v[66:67], v[76:77], v[66:67]
	v_add_f64 v[68:69], v[86:87], v[68:69]
	v_mul_f64 v[76:77], v[22:23], s[16:17]
	v_mul_f64 v[86:87], v[96:97], s[14:15]
	v_fma_f64 v[106:107], v[20:21], s[34:35], v[64:65]
	v_add_f64 v[34:35], v[104:105], v[34:35]
	v_fma_f64 v[104:105], v[98:99], s[36:37], v[62:63]
	v_fma_f64 v[62:63], v[98:99], s[36:37], -v[62:63]
	v_fma_f64 v[64:65], v[20:21], s[38:39], v[64:65]
	v_add_f64 v[56:57], v[88:89], v[56:57]
	v_fma_f64 v[108:109], v[98:99], s[14:15], v[76:77]
	v_fma_f64 v[110:111], v[20:21], s[8:9], v[86:87]
	v_add_f64 v[88:89], v[106:107], v[90:91]
	v_add_f64 v[90:91], v[82:83], -v[30:31]
	v_add_f64 v[30:31], v[82:83], v[30:31]
	v_fma_f64 v[100:101], v[20:21], s[40:41], v[100:101]
	v_add_f64 v[62:63], v[62:63], v[70:71]
	v_add_f64 v[64:65], v[64:65], v[74:75]
	;; [unrolled: 1-line block ×4, first 2 shown]
	v_mul_f64 v[82:83], v[96:97], s[4:5]
	v_fma_f64 v[76:77], v[98:99], s[14:15], -v[76:77]
	v_add_f64 v[92:93], v[80:81], v[50:51]
	v_add_f64 v[50:51], v[80:81], -v[50:51]
	v_mul_f64 v[80:81], v[90:91], s[8:9]
	v_mul_f64 v[94:95], v[30:31], s[14:15]
	v_add_f64 v[58:59], v[100:101], v[58:59]
	v_mul_f64 v[22:23], v[22:23], s[26:27]
	v_fma_f64 v[86:87], v[20:21], s[16:17], v[86:87]
	v_fma_f64 v[100:101], v[20:21], s[10:11], v[82:83]
	;; [unrolled: 1-line block ×3, first 2 shown]
	v_add_f64 v[44:45], v[76:77], v[44:45]
	v_fma_f64 v[76:77], v[92:93], s[14:15], v[80:81]
	v_fma_f64 v[82:83], v[50:51], s[16:17], v[94:95]
	v_add_f64 v[72:73], v[104:105], v[72:73]
	v_fma_f64 v[96:97], v[98:99], s[4:5], v[22:23]
	v_fma_f64 v[22:23], v[98:99], s[4:5], -v[22:23]
	v_add_f64 v[48:49], v[86:87], v[48:49]
	v_add_f64 v[20:21], v[20:21], v[26:27]
	v_mul_f64 v[26:27], v[30:31], s[42:43]
	v_add_f64 v[36:37], v[76:77], v[36:37]
	v_add_f64 v[38:39], v[82:83], v[38:39]
	v_fma_f64 v[76:77], v[92:93], s[14:15], -v[80:81]
	v_mul_f64 v[82:83], v[90:91], s[30:31]
	v_add_f64 v[22:23], v[22:23], v[24:25]
	v_mul_f64 v[24:25], v[90:91], s[40:41]
	v_fma_f64 v[80:81], v[50:51], s[8:9], v[94:95]
	v_mul_f64 v[94:95], v[30:31], s[28:29]
	v_fma_f64 v[98:99], v[50:51], s[44:45], v[26:27]
	v_fma_f64 v[26:27], v[50:51], s[40:41], v[26:27]
	v_add_f64 v[40:41], v[76:77], v[40:41]
	v_fma_f64 v[76:77], v[92:93], s[28:29], v[82:83]
	v_add_f64 v[78:79], v[96:97], v[78:79]
	v_fma_f64 v[96:97], v[92:93], s[42:43], v[24:25]
	v_fma_f64 v[24:25], v[92:93], s[42:43], -v[24:25]
	v_add_f64 v[28:29], v[80:81], v[28:29]
	v_fma_f64 v[80:81], v[50:51], s[24:25], v[94:95]
	v_add_f64 v[26:27], v[26:27], v[42:43]
	v_mul_f64 v[42:43], v[90:91], s[26:27]
	v_add_f64 v[66:67], v[76:77], v[66:67]
	v_mul_f64 v[76:77], v[90:91], s[18:19]
	v_add_f64 v[86:87], v[100:101], v[102:103]
	v_add_f64 v[34:35], v[96:97], v[34:35]
	v_add_f64 v[24:25], v[24:25], v[52:53]
	v_mul_f64 v[52:53], v[30:31], s[4:5]
	v_add_f64 v[68:69], v[80:81], v[68:69]
	v_mul_f64 v[80:81], v[30:31], s[20:21]
	v_fma_f64 v[96:97], v[92:93], s[4:5], v[42:43]
	v_fma_f64 v[42:43], v[92:93], s[4:5], -v[42:43]
	v_fma_f64 v[100:101], v[92:93], s[20:21], v[76:77]
	v_add_f64 v[60:61], v[98:99], v[60:61]
	v_fma_f64 v[82:83], v[92:93], s[28:29], -v[82:83]
	v_fma_f64 v[98:99], v[50:51], s[10:11], v[52:53]
	v_fma_f64 v[52:53], v[50:51], s[26:27], v[52:53]
	;; [unrolled: 1-line block ×4, first 2 shown]
	v_add_f64 v[42:43], v[42:43], v[62:63]
	v_add_f64 v[62:63], v[100:101], v[70:71]
	v_add_f64 v[70:71], v[84:85], -v[46:47]
	v_add_f64 v[46:47], v[84:85], v[46:47]
	v_add_f64 v[56:57], v[82:83], v[56:57]
	;; [unrolled: 1-line block ×5, first 2 shown]
	v_mul_f64 v[74:75], v[90:91], s[34:35]
	v_mul_f64 v[30:31], v[30:31], s[36:37]
	v_fma_f64 v[76:77], v[92:93], s[20:21], -v[76:77]
	v_add_f64 v[84:85], v[54:55], v[32:33]
	v_add_f64 v[32:33], v[54:55], -v[32:33]
	v_mul_f64 v[54:55], v[70:71], s[24:25]
	v_mul_f64 v[88:89], v[46:47], s[28:29]
	v_add_f64 v[58:59], v[94:95], v[58:59]
	v_fma_f64 v[80:81], v[50:51], s[18:19], v[80:81]
	v_fma_f64 v[90:91], v[92:93], s[36:37], v[74:75]
	;; [unrolled: 1-line block ×3, first 2 shown]
	v_fma_f64 v[74:75], v[92:93], s[36:37], -v[74:75]
	v_fma_f64 v[30:31], v[50:51], s[34:35], v[30:31]
	v_add_f64 v[44:45], v[76:77], v[44:45]
	v_fma_f64 v[50:51], v[84:85], s[28:29], v[54:55]
	v_fma_f64 v[76:77], v[32:33], s[30:31], v[88:89]
	v_add_f64 v[48:49], v[80:81], v[48:49]
	v_add_f64 v[78:79], v[90:91], v[78:79]
	;; [unrolled: 1-line block ×5, first 2 shown]
	v_mul_f64 v[30:31], v[70:71], s[38:39]
	v_mul_f64 v[74:75], v[46:47], s[36:37]
	v_add_f64 v[36:37], v[50:51], v[36:37]
	v_add_f64 v[38:39], v[76:77], v[38:39]
	v_fma_f64 v[50:51], v[84:85], s[28:29], -v[54:55]
	v_mul_f64 v[76:77], v[70:71], s[26:27]
	v_fma_f64 v[54:55], v[32:33], s[24:25], v[88:89]
	v_mul_f64 v[86:87], v[46:47], s[4:5]
	v_fma_f64 v[88:89], v[84:85], s[36:37], v[30:31]
	v_fma_f64 v[90:91], v[32:33], s[34:35], v[74:75]
	v_fma_f64 v[30:31], v[84:85], s[36:37], -v[30:31]
	v_fma_f64 v[74:75], v[32:33], s[38:39], v[74:75]
	v_add_f64 v[40:41], v[50:51], v[40:41]
	v_fma_f64 v[50:51], v[84:85], s[4:5], v[76:77]
	v_add_f64 v[28:29], v[54:55], v[28:29]
	;; [unrolled: 2-line block ×3, first 2 shown]
	v_add_f64 v[60:61], v[90:91], v[60:61]
	v_add_f64 v[24:25], v[30:31], v[24:25]
	;; [unrolled: 1-line block ×3, first 2 shown]
	v_mul_f64 v[30:31], v[70:71], s[8:9]
	v_mul_f64 v[74:75], v[46:47], s[14:15]
	v_add_f64 v[50:51], v[50:51], v[66:67]
	v_fma_f64 v[66:67], v[84:85], s[4:5], -v[76:77]
	v_mul_f64 v[76:77], v[70:71], s[44:45]
	v_add_f64 v[54:55], v[54:55], v[68:69]
	v_fma_f64 v[68:69], v[32:33], s[26:27], v[86:87]
	v_mul_f64 v[86:87], v[46:47], s[42:43]
	v_fma_f64 v[88:89], v[84:85], s[14:15], v[30:31]
	v_fma_f64 v[90:91], v[32:33], s[16:17], v[74:75]
	v_fma_f64 v[30:31], v[84:85], s[14:15], -v[30:31]
	v_fma_f64 v[74:75], v[32:33], s[8:9], v[74:75]
	v_add_f64 v[56:57], v[66:67], v[56:57]
	v_fma_f64 v[66:67], v[84:85], s[42:43], v[76:77]
	v_add_f64 v[58:59], v[68:69], v[58:59]
	v_fma_f64 v[68:69], v[32:33], s[40:41], v[86:87]
	v_mul_f64 v[46:47], v[46:47], s[20:21]
	v_add_f64 v[72:73], v[96:97], v[72:73]
	v_add_f64 v[30:31], v[30:31], v[42:43]
	v_add_f64 v[42:43], v[74:75], v[52:53]
	v_mul_f64 v[52:53], v[70:71], s[22:23]
	v_add_f64 v[62:63], v[66:67], v[62:63]
	v_add_f64 v[66:67], v[14:15], -v[16:17]
	v_add_f64 v[14:15], v[14:15], v[16:17]
	v_add_f64 v[64:65], v[68:69], v[64:65]
	v_fma_f64 v[16:17], v[84:85], s[42:43], -v[76:77]
	v_fma_f64 v[68:69], v[32:33], s[44:45], v[86:87]
	v_add_f64 v[76:77], v[12:13], v[18:19]
	v_fma_f64 v[70:71], v[84:85], s[20:21], v[52:53]
	v_add_f64 v[12:13], v[12:13], -v[18:19]
	v_mul_f64 v[18:19], v[66:67], s[34:35]
	v_mul_f64 v[86:87], v[14:15], s[36:37]
	v_fma_f64 v[52:53], v[84:85], s[20:21], -v[52:53]
	v_fma_f64 v[74:75], v[32:33], s[18:19], v[46:47]
	v_fma_f64 v[32:33], v[32:33], s[22:23], v[46:47]
	v_add_f64 v[16:17], v[16:17], v[44:45]
	v_add_f64 v[44:45], v[68:69], v[48:49]
	;; [unrolled: 1-line block ×3, first 2 shown]
	v_fma_f64 v[68:69], v[76:77], s[36:37], v[18:19]
	v_fma_f64 v[70:71], v[12:13], s[38:39], v[86:87]
	v_add_f64 v[22:23], v[52:53], v[22:23]
	v_mul_f64 v[52:53], v[14:15], s[14:15]
	v_add_f64 v[48:49], v[74:75], v[80:81]
	v_add_f64 v[20:21], v[32:33], v[20:21]
	v_mul_f64 v[32:33], v[66:67], s[16:17]
	v_fma_f64 v[18:19], v[76:77], s[36:37], -v[18:19]
	v_fma_f64 v[74:75], v[12:13], s[34:35], v[86:87]
	v_add_f64 v[36:37], v[68:69], v[36:37]
	v_add_f64 v[38:39], v[70:71], v[38:39]
	v_mul_f64 v[68:69], v[66:67], s[18:19]
	v_mul_f64 v[70:71], v[14:15], s[20:21]
	v_fma_f64 v[80:81], v[12:13], s[8:9], v[52:53]
	v_fma_f64 v[78:79], v[76:77], s[14:15], v[32:33]
	v_add_f64 v[18:19], v[18:19], v[40:41]
	v_add_f64 v[28:29], v[74:75], v[28:29]
	v_fma_f64 v[32:33], v[76:77], s[14:15], -v[32:33]
	v_fma_f64 v[40:41], v[12:13], s[16:17], v[52:53]
	v_fma_f64 v[52:53], v[76:77], s[20:21], v[68:69]
	;; [unrolled: 1-line block ×3, first 2 shown]
	v_add_f64 v[60:61], v[80:81], v[60:61]
	v_mul_f64 v[80:81], v[14:15], s[42:43]
	v_add_f64 v[82:83], v[90:91], v[82:83]
	v_add_f64 v[34:35], v[78:79], v[34:35]
	v_mul_f64 v[78:79], v[66:67], s[44:45]
	v_add_f64 v[24:25], v[32:33], v[24:25]
	v_add_f64 v[26:27], v[40:41], v[26:27]
	;; [unrolled: 1-line block ×4, first 2 shown]
	v_fma_f64 v[50:51], v[76:77], s[20:21], -v[68:69]
	v_fma_f64 v[52:53], v[12:13], s[18:19], v[70:71]
	v_fma_f64 v[68:69], v[12:13], s[40:41], v[80:81]
	v_mul_f64 v[70:71], v[66:67], s[26:27]
	v_mul_f64 v[74:75], v[14:15], s[4:5]
	v_add_f64 v[72:73], v[88:89], v[72:73]
	v_fma_f64 v[54:55], v[76:77], s[42:43], v[78:79]
	v_fma_f64 v[78:79], v[76:77], s[42:43], -v[78:79]
	v_add_f64 v[50:51], v[50:51], v[56:57]
	v_add_f64 v[52:53], v[52:53], v[58:59]
	;; [unrolled: 1-line block ×3, first 2 shown]
	v_fma_f64 v[58:59], v[76:77], s[4:5], v[70:71]
	v_fma_f64 v[68:69], v[12:13], s[10:11], v[74:75]
	v_mul_f64 v[66:67], v[66:67], s[24:25]
	v_add_f64 v[54:55], v[54:55], v[72:73]
	v_add_f64 v[72:73], v[78:79], v[30:31]
	v_fma_f64 v[30:31], v[76:77], s[4:5], -v[70:71]
	v_fma_f64 v[70:71], v[12:13], s[26:27], v[74:75]
	v_mul_f64 v[14:15], v[14:15], s[28:29]
	v_add_f64 v[58:59], v[58:59], v[62:63]
	v_add_f64 v[62:63], v[68:69], v[64:65]
	v_add_f64 v[64:65], v[6:7], -v[10:11]
	v_add_f64 v[68:69], v[6:7], v[10:11]
	v_fma_f64 v[6:7], v[76:77], s[28:29], v[66:67]
	v_add_f64 v[78:79], v[4:5], -v[8:9]
	v_add_f64 v[44:45], v[70:71], v[44:45]
	v_add_f64 v[70:71], v[4:5], v[8:9]
	v_fma_f64 v[80:81], v[12:13], s[44:45], v[80:81]
	v_add_f64 v[74:75], v[30:31], v[16:17]
	v_mul_f64 v[4:5], v[64:65], s[40:41]
	v_fma_f64 v[10:11], v[12:13], s[30:31], v[14:15]
	v_mul_f64 v[8:9], v[68:69], s[42:43]
	v_fma_f64 v[16:17], v[76:77], s[28:29], -v[66:67]
	v_fma_f64 v[12:13], v[12:13], s[24:25], v[14:15]
	v_add_f64 v[46:47], v[6:7], v[46:47]
	v_mul_f64 v[30:31], v[64:65], s[26:27]
	v_mul_f64 v[66:67], v[68:69], s[4:5]
	v_fma_f64 v[6:7], v[70:71], s[42:43], v[4:5]
	v_add_f64 v[42:43], v[80:81], v[42:43]
	v_add_f64 v[48:49], v[10:11], v[48:49]
	v_fma_f64 v[10:11], v[78:79], s[44:45], v[8:9]
	v_add_f64 v[76:77], v[16:17], v[22:23]
	v_add_f64 v[80:81], v[12:13], v[20:21]
	v_fma_f64 v[12:13], v[70:71], s[42:43], -v[4:5]
	v_fma_f64 v[14:15], v[78:79], s[40:41], v[8:9]
	v_fma_f64 v[16:17], v[70:71], s[4:5], v[30:31]
	;; [unrolled: 1-line block ×3, first 2 shown]
	v_add_f64 v[4:5], v[6:7], v[36:37]
	v_mul_f64 v[22:23], v[64:65], s[34:35]
	v_mul_f64 v[36:37], v[68:69], s[36:37]
	v_add_f64 v[6:7], v[10:11], v[38:39]
	v_add_f64 v[8:9], v[12:13], v[18:19]
	;; [unrolled: 1-line block ×5, first 2 shown]
	v_fma_f64 v[16:17], v[70:71], s[4:5], -v[30:31]
	v_fma_f64 v[18:19], v[78:79], s[26:27], v[66:67]
	v_fma_f64 v[20:21], v[70:71], s[36:37], v[22:23]
	;; [unrolled: 1-line block ×3, first 2 shown]
	v_mul_f64 v[30:31], v[64:65], s[22:23]
	v_mul_f64 v[34:35], v[68:69], s[20:21]
	v_fma_f64 v[38:39], v[70:71], s[36:37], -v[22:23]
	v_fma_f64 v[36:37], v[78:79], s[34:35], v[36:37]
	v_add_f64 v[16:17], v[16:17], v[24:25]
	v_add_f64 v[18:19], v[18:19], v[26:27]
	;; [unrolled: 1-line block ×4, first 2 shown]
	v_mul_f64 v[40:41], v[68:69], s[28:29]
	v_fma_f64 v[32:33], v[78:79], s[18:19], v[34:35]
	v_add_f64 v[24:25], v[38:39], v[50:51]
	v_add_f64 v[26:27], v[36:37], v[52:53]
	v_fma_f64 v[36:37], v[70:71], s[20:21], -v[30:31]
	v_fma_f64 v[34:35], v[78:79], s[22:23], v[34:35]
	v_mul_f64 v[38:39], v[64:65], s[24:25]
	v_mul_f64 v[50:51], v[64:65], s[16:17]
	;; [unrolled: 1-line block ×3, first 2 shown]
	v_fma_f64 v[28:29], v[70:71], s[20:21], v[30:31]
	v_add_f64 v[30:31], v[32:33], v[56:57]
	v_fma_f64 v[56:57], v[78:79], s[24:25], v[40:41]
	v_add_f64 v[32:33], v[36:37], v[72:73]
	v_add_f64 v[34:35], v[34:35], v[42:43]
	v_fma_f64 v[36:37], v[70:71], s[28:29], v[38:39]
	v_fma_f64 v[42:43], v[78:79], s[30:31], v[40:41]
	;; [unrolled: 1-line block ×4, first 2 shown]
	v_fma_f64 v[50:51], v[70:71], s[14:15], -v[50:51]
	v_fma_f64 v[52:53], v[78:79], s[16:17], v[52:53]
	v_add_f64 v[28:29], v[28:29], v[54:55]
	v_fma_f64 v[54:55], v[70:71], s[28:29], -v[38:39]
	v_add_f64 v[36:37], v[36:37], v[58:59]
	v_add_f64 v[38:39], v[42:43], v[62:63]
	;; [unrolled: 1-line block ×8, first 2 shown]
	ds_write_b128 v217, v[0:3]
	ds_write_b128 v217, v[4:7] offset:272
	ds_write_b128 v217, v[12:15] offset:544
	;; [unrolled: 1-line block ×12, first 2 shown]
	s_waitcnt lgkmcnt(0)
	s_barrier
	s_and_b64 exec, exec, vcc
	s_cbranch_execz .LBB0_15
; %bb.14:
	global_load_dwordx4 v[0:3], v255, s[6:7]
	ds_read_b128 v[4:7], v217
	ds_read_b128 v[8:11], v217 offset:208
	v_mad_u64_u32 v[12:13], s[4:5], s2, v152, 0
	v_mad_u64_u32 v[14:15], s[4:5], s0, v181, 0
	s_mul_i32 s5, s1, 0xd0
	s_mul_hi_u32 s8, s0, 0xd0
	v_mad_u64_u32 v[18:19], s[2:3], s3, v152, v[13:14]
	s_mul_i32 s4, s0, 0xd0
	s_add_i32 s5, s8, s5
	v_mov_b32_e32 v13, v18
	s_waitcnt vmcnt(0) lgkmcnt(1)
	v_mul_f64 v[16:17], v[6:7], v[2:3]
	v_mul_f64 v[2:3], v[4:5], v[2:3]
	v_fma_f64 v[4:5], v[4:5], v[0:1], v[16:17]
	v_fma_f64 v[0:1], v[0:1], v[6:7], -v[2:3]
	v_mad_u64_u32 v[19:20], s[2:3], s1, v181, v[15:16]
	s_mov_b32 s2, 0x1288b013
	s_mov_b32 s3, 0x3f7288b0
	v_lshlrev_b64 v[6:7], 4, v[12:13]
	v_mov_b32_e32 v15, v19
	v_mul_f64 v[2:3], v[4:5], s[2:3]
	v_mul_f64 v[4:5], v[0:1], s[2:3]
	v_mov_b32_e32 v16, s13
	v_lshlrev_b64 v[12:13], 4, v[14:15]
	v_add_co_u32_e32 v0, vcc, s12, v6
	v_addc_co_u32_e32 v1, vcc, v16, v7, vcc
	v_add_co_u32_e32 v6, vcc, v0, v12
	v_addc_co_u32_e32 v7, vcc, v1, v13, vcc
	global_store_dwordx4 v[6:7], v[2:5], off
	global_load_dwordx4 v[2:5], v255, s[6:7] offset:208
	v_add_co_u32_e32 v14, vcc, s4, v6
	s_waitcnt vmcnt(0) lgkmcnt(0)
	v_mul_f64 v[12:13], v[10:11], v[4:5]
	v_mul_f64 v[4:5], v[8:9], v[4:5]
	v_fma_f64 v[8:9], v[8:9], v[2:3], v[12:13]
	v_fma_f64 v[4:5], v[2:3], v[10:11], -v[4:5]
	v_mul_f64 v[2:3], v[8:9], s[2:3]
	v_mul_f64 v[4:5], v[4:5], s[2:3]
	v_mov_b32_e32 v8, s5
	v_addc_co_u32_e32 v15, vcc, v7, v8, vcc
	global_store_dwordx4 v[14:15], v[2:5], off
	global_load_dwordx4 v[2:5], v255, s[6:7] offset:416
	ds_read_b128 v[6:9], v217 offset:416
	ds_read_b128 v[10:13], v217 offset:624
	s_waitcnt vmcnt(0) lgkmcnt(1)
	v_mul_f64 v[16:17], v[8:9], v[4:5]
	v_mul_f64 v[4:5], v[6:7], v[4:5]
	v_fma_f64 v[6:7], v[6:7], v[2:3], v[16:17]
	v_fma_f64 v[4:5], v[2:3], v[8:9], -v[4:5]
	v_mul_f64 v[2:3], v[6:7], s[2:3]
	v_mul_f64 v[4:5], v[4:5], s[2:3]
	v_mov_b32_e32 v7, s5
	v_add_co_u32_e32 v6, vcc, s4, v14
	v_addc_co_u32_e32 v7, vcc, v15, v7, vcc
	v_add_co_u32_e32 v14, vcc, s4, v6
	global_store_dwordx4 v[6:7], v[2:5], off
	global_load_dwordx4 v[2:5], v255, s[6:7] offset:624
	s_waitcnt vmcnt(0) lgkmcnt(0)
	v_mul_f64 v[8:9], v[12:13], v[4:5]
	v_mul_f64 v[4:5], v[10:11], v[4:5]
	v_fma_f64 v[8:9], v[10:11], v[2:3], v[8:9]
	v_fma_f64 v[4:5], v[2:3], v[12:13], -v[4:5]
	v_mul_f64 v[2:3], v[8:9], s[2:3]
	v_mul_f64 v[4:5], v[4:5], s[2:3]
	v_mov_b32_e32 v8, s5
	v_addc_co_u32_e32 v15, vcc, v7, v8, vcc
	global_store_dwordx4 v[14:15], v[2:5], off
	global_load_dwordx4 v[2:5], v255, s[6:7] offset:832
	ds_read_b128 v[6:9], v217 offset:832
	ds_read_b128 v[10:13], v217 offset:1040
	s_waitcnt vmcnt(0) lgkmcnt(1)
	v_mul_f64 v[16:17], v[8:9], v[4:5]
	v_mul_f64 v[4:5], v[6:7], v[4:5]
	v_fma_f64 v[6:7], v[6:7], v[2:3], v[16:17]
	v_fma_f64 v[4:5], v[2:3], v[8:9], -v[4:5]
	v_mul_f64 v[2:3], v[6:7], s[2:3]
	v_mul_f64 v[4:5], v[4:5], s[2:3]
	v_mov_b32_e32 v7, s5
	v_add_co_u32_e32 v6, vcc, s4, v14
	v_addc_co_u32_e32 v7, vcc, v15, v7, vcc
	v_add_co_u32_e32 v14, vcc, s4, v6
	global_store_dwordx4 v[6:7], v[2:5], off
	global_load_dwordx4 v[2:5], v255, s[6:7] offset:1040
	;; [unrolled: 26-line block ×6, first 2 shown]
	s_waitcnt vmcnt(0) lgkmcnt(0)
	v_mul_f64 v[8:9], v[12:13], v[4:5]
	v_mul_f64 v[4:5], v[10:11], v[4:5]
	v_fma_f64 v[8:9], v[10:11], v[2:3], v[8:9]
	v_fma_f64 v[4:5], v[2:3], v[12:13], -v[4:5]
	v_mul_f64 v[2:3], v[8:9], s[2:3]
	v_mul_f64 v[4:5], v[4:5], s[2:3]
	v_mov_b32_e32 v8, s5
	v_addc_co_u32_e32 v15, vcc, v7, v8, vcc
	global_store_dwordx4 v[14:15], v[2:5], off
	global_load_dwordx4 v[2:5], v255, s[6:7] offset:2912
	ds_read_b128 v[6:9], v217 offset:2912
	ds_read_b128 v[10:13], v217 offset:3120
	s_waitcnt vmcnt(0) lgkmcnt(1)
	v_mul_f64 v[16:17], v[8:9], v[4:5]
	v_mul_f64 v[4:5], v[6:7], v[4:5]
	v_fma_f64 v[6:7], v[6:7], v[2:3], v[16:17]
	v_fma_f64 v[4:5], v[2:3], v[8:9], -v[4:5]
	v_mul_f64 v[2:3], v[6:7], s[2:3]
	v_mul_f64 v[4:5], v[4:5], s[2:3]
	v_mov_b32_e32 v7, s5
	v_add_co_u32_e32 v6, vcc, s4, v14
	v_addc_co_u32_e32 v7, vcc, v15, v7, vcc
	global_store_dwordx4 v[6:7], v[2:5], off
	global_load_dwordx4 v[2:5], v255, s[6:7] offset:3120
	v_add_co_u32_e32 v6, vcc, s4, v6
	s_waitcnt vmcnt(0) lgkmcnt(0)
	v_mul_f64 v[8:9], v[12:13], v[4:5]
	v_mul_f64 v[4:5], v[10:11], v[4:5]
	v_fma_f64 v[8:9], v[10:11], v[2:3], v[8:9]
	v_fma_f64 v[4:5], v[2:3], v[12:13], -v[4:5]
	v_or_b32_e32 v12, 0xd0, v181
	v_mul_f64 v[2:3], v[8:9], s[2:3]
	v_mul_f64 v[4:5], v[4:5], s[2:3]
	v_mov_b32_e32 v8, s5
	v_addc_co_u32_e32 v7, vcc, v7, v8, vcc
	global_store_dwordx4 v[6:7], v[2:5], off
	global_load_dwordx4 v[2:5], v255, s[6:7] offset:3328
	ds_read_b128 v[6:9], v217 offset:3328
	s_waitcnt vmcnt(0) lgkmcnt(0)
	v_mul_f64 v[10:11], v[8:9], v[4:5]
	v_mul_f64 v[4:5], v[6:7], v[4:5]
	v_fma_f64 v[6:7], v[6:7], v[2:3], v[10:11]
	v_fma_f64 v[4:5], v[2:3], v[8:9], -v[4:5]
	v_mad_u64_u32 v[8:9], s[4:5], s0, v12, 0
	v_mov_b32_e32 v2, v9
	v_mad_u64_u32 v[9:10], s[0:1], s1, v12, v[2:3]
	v_mul_f64 v[2:3], v[6:7], s[2:3]
	v_mul_f64 v[4:5], v[4:5], s[2:3]
	v_lshlrev_b64 v[6:7], 4, v[8:9]
	v_add_co_u32_e32 v0, vcc, v0, v6
	v_addc_co_u32_e32 v1, vcc, v1, v7, vcc
	global_store_dwordx4 v[0:1], v[2:5], off
.LBB0_15:
	s_endpgm
	.section	.rodata,"a",@progbits
	.p2align	6, 0x0
	.amdhsa_kernel bluestein_single_back_len221_dim1_dp_op_CI_CI
		.amdhsa_group_segment_fixed_size 24752
		.amdhsa_private_segment_fixed_size 348
		.amdhsa_kernarg_size 104
		.amdhsa_user_sgpr_count 6
		.amdhsa_user_sgpr_private_segment_buffer 1
		.amdhsa_user_sgpr_dispatch_ptr 0
		.amdhsa_user_sgpr_queue_ptr 0
		.amdhsa_user_sgpr_kernarg_segment_ptr 1
		.amdhsa_user_sgpr_dispatch_id 0
		.amdhsa_user_sgpr_flat_scratch_init 0
		.amdhsa_user_sgpr_private_segment_size 0
		.amdhsa_uses_dynamic_stack 0
		.amdhsa_system_sgpr_private_segment_wavefront_offset 1
		.amdhsa_system_sgpr_workgroup_id_x 1
		.amdhsa_system_sgpr_workgroup_id_y 0
		.amdhsa_system_sgpr_workgroup_id_z 0
		.amdhsa_system_sgpr_workgroup_info 0
		.amdhsa_system_vgpr_workitem_id 0
		.amdhsa_next_free_vgpr 256
		.amdhsa_next_free_sgpr 64
		.amdhsa_reserve_vcc 1
		.amdhsa_reserve_flat_scratch 0
		.amdhsa_float_round_mode_32 0
		.amdhsa_float_round_mode_16_64 0
		.amdhsa_float_denorm_mode_32 3
		.amdhsa_float_denorm_mode_16_64 3
		.amdhsa_dx10_clamp 1
		.amdhsa_ieee_mode 1
		.amdhsa_fp16_overflow 0
		.amdhsa_exception_fp_ieee_invalid_op 0
		.amdhsa_exception_fp_denorm_src 0
		.amdhsa_exception_fp_ieee_div_zero 0
		.amdhsa_exception_fp_ieee_overflow 0
		.amdhsa_exception_fp_ieee_underflow 0
		.amdhsa_exception_fp_ieee_inexact 0
		.amdhsa_exception_int_div_zero 0
	.end_amdhsa_kernel
	.text
.Lfunc_end0:
	.size	bluestein_single_back_len221_dim1_dp_op_CI_CI, .Lfunc_end0-bluestein_single_back_len221_dim1_dp_op_CI_CI
                                        ; -- End function
	.section	.AMDGPU.csdata,"",@progbits
; Kernel info:
; codeLenInByte = 28312
; NumSgprs: 68
; NumVgprs: 256
; ScratchSize: 348
; MemoryBound: 0
; FloatMode: 240
; IeeeMode: 1
; LDSByteSize: 24752 bytes/workgroup (compile time only)
; SGPRBlocks: 8
; VGPRBlocks: 63
; NumSGPRsForWavesPerEU: 68
; NumVGPRsForWavesPerEU: 256
; Occupancy: 1
; WaveLimiterHint : 1
; COMPUTE_PGM_RSRC2:SCRATCH_EN: 1
; COMPUTE_PGM_RSRC2:USER_SGPR: 6
; COMPUTE_PGM_RSRC2:TRAP_HANDLER: 0
; COMPUTE_PGM_RSRC2:TGID_X_EN: 1
; COMPUTE_PGM_RSRC2:TGID_Y_EN: 0
; COMPUTE_PGM_RSRC2:TGID_Z_EN: 0
; COMPUTE_PGM_RSRC2:TIDIG_COMP_CNT: 0
	.type	__hip_cuid_11a465320e3e52f5,@object ; @__hip_cuid_11a465320e3e52f5
	.section	.bss,"aw",@nobits
	.globl	__hip_cuid_11a465320e3e52f5
__hip_cuid_11a465320e3e52f5:
	.byte	0                               ; 0x0
	.size	__hip_cuid_11a465320e3e52f5, 1

	.ident	"AMD clang version 19.0.0git (https://github.com/RadeonOpenCompute/llvm-project roc-6.4.0 25133 c7fe45cf4b819c5991fe208aaa96edf142730f1d)"
	.section	".note.GNU-stack","",@progbits
	.addrsig
	.addrsig_sym __hip_cuid_11a465320e3e52f5
	.amdgpu_metadata
---
amdhsa.kernels:
  - .args:
      - .actual_access:  read_only
        .address_space:  global
        .offset:         0
        .size:           8
        .value_kind:     global_buffer
      - .actual_access:  read_only
        .address_space:  global
        .offset:         8
        .size:           8
        .value_kind:     global_buffer
      - .actual_access:  read_only
        .address_space:  global
        .offset:         16
        .size:           8
        .value_kind:     global_buffer
      - .actual_access:  read_only
        .address_space:  global
        .offset:         24
        .size:           8
        .value_kind:     global_buffer
      - .actual_access:  read_only
        .address_space:  global
        .offset:         32
        .size:           8
        .value_kind:     global_buffer
      - .offset:         40
        .size:           8
        .value_kind:     by_value
      - .address_space:  global
        .offset:         48
        .size:           8
        .value_kind:     global_buffer
      - .address_space:  global
        .offset:         56
        .size:           8
        .value_kind:     global_buffer
      - .address_space:  global
        .offset:         64
        .size:           8
        .value_kind:     global_buffer
      - .address_space:  global
        .offset:         72
        .size:           8
        .value_kind:     global_buffer
      - .offset:         80
        .size:           4
        .value_kind:     by_value
      - .address_space:  global
        .offset:         88
        .size:           8
        .value_kind:     global_buffer
      - .address_space:  global
        .offset:         96
        .size:           8
        .value_kind:     global_buffer
    .group_segment_fixed_size: 24752
    .kernarg_segment_align: 8
    .kernarg_segment_size: 104
    .language:       OpenCL C
    .language_version:
      - 2
      - 0
    .max_flat_workgroup_size: 119
    .name:           bluestein_single_back_len221_dim1_dp_op_CI_CI
    .private_segment_fixed_size: 348
    .sgpr_count:     68
    .sgpr_spill_count: 0
    .symbol:         bluestein_single_back_len221_dim1_dp_op_CI_CI.kd
    .uniform_work_group_size: 1
    .uses_dynamic_stack: false
    .vgpr_count:     256
    .vgpr_spill_count: 110
    .wavefront_size: 64
amdhsa.target:   amdgcn-amd-amdhsa--gfx906
amdhsa.version:
  - 1
  - 2
...

	.end_amdgpu_metadata
